;; amdgpu-corpus repo=ROCm/rocFFT kind=compiled arch=gfx950 opt=O3
	.text
	.amdgcn_target "amdgcn-amd-amdhsa--gfx950"
	.amdhsa_code_object_version 6
	.protected	bluestein_single_back_len1870_dim1_dp_op_CI_CI ; -- Begin function bluestein_single_back_len1870_dim1_dp_op_CI_CI
	.globl	bluestein_single_back_len1870_dim1_dp_op_CI_CI
	.p2align	8
	.type	bluestein_single_back_len1870_dim1_dp_op_CI_CI,@function
bluestein_single_back_len1870_dim1_dp_op_CI_CI: ; @bluestein_single_back_len1870_dim1_dp_op_CI_CI
; %bb.0:
	s_load_dwordx4 s[4:7], s[0:1], 0x28
	v_mul_u32_u24_e32 v1, 0x15f, v0
	v_add_u32_sdwa v2, s2, v1 dst_sel:DWORD dst_unused:UNUSED_PAD src0_sel:DWORD src1_sel:WORD_1
	v_mov_b32_e32 v3, 0
	v_accvgpr_write_b32 a0, v2
	s_waitcnt lgkmcnt(0)
	v_cmp_gt_u64_e32 vcc, s[4:5], v[2:3]
	s_and_saveexec_b64 s[2:3], vcc
	s_cbranch_execz .LBB0_23
; %bb.1:
	s_load_dwordx2 s[12:13], s[0:1], 0x0
	s_load_dwordx2 s[14:15], s[0:1], 0x38
	s_movk_i32 s2, 0xbb
	v_mul_lo_u16_sdwa v1, v1, s2 dst_sel:DWORD dst_unused:UNUSED_PAD src0_sel:WORD_1 src1_sel:DWORD
	v_sub_u16_e32 v197, v0, v1
	s_movk_i32 s2, 0x6e
	v_cmp_gt_u16_e64 s[4:5], s2, v197
	v_lshlrev_b32_e32 v196, 4, v197
	s_and_saveexec_b64 s[2:3], s[4:5]
	s_cbranch_execz .LBB0_3
; %bb.2:
	s_load_dwordx2 s[8:9], s[0:1], 0x18
	v_accvgpr_read_b32 v10, a0
	v_mov_b32_e32 v0, s6
	v_mov_b32_e32 v1, s7
	;; [unrolled: 1-line block ×3, first 2 shown]
	s_waitcnt lgkmcnt(0)
	s_load_dwordx4 s[8:11], s[8:9], 0x0
	v_mov_b32_e32 v38, 0x6e0
	s_waitcnt lgkmcnt(0)
	v_mad_u64_u32 v[2:3], s[6:7], s10, v10, 0
	v_mad_u64_u32 v[4:5], s[6:7], s8, v197, 0
	v_mov_b32_e32 v6, v3
	v_mov_b32_e32 v8, v5
	v_mad_u64_u32 v[6:7], s[6:7], s11, v10, v[6:7]
	v_mov_b32_e32 v3, v6
	v_mad_u64_u32 v[6:7], s[6:7], s9, v197, v[8:9]
	v_mov_b32_e32 v197, 0
	s_movk_i32 s6, 0x1000
	v_lshl_add_u64 v[120:121], s[12:13], 0, v[196:197]
	v_add_co_u32_e32 v52, vcc, s6, v120
	s_movk_i32 s7, 0x2000
	s_nop 0
	v_addc_co_u32_e32 v53, vcc, 0, v121, vcc
	v_add_co_u32_e32 v54, vcc, s7, v120
	s_movk_i32 s10, 0x3000
	s_nop 0
	v_addc_co_u32_e32 v55, vcc, 0, v121, vcc
	v_mov_b32_e32 v5, v6
	v_lshl_add_u64 v[0:1], v[2:3], 4, v[0:1]
	v_add_co_u32_e32 v56, vcc, s10, v120
	v_lshl_add_u64 v[36:37], v[4:5], 4, v[0:1]
	s_movk_i32 s11, 0x4000
	v_addc_co_u32_e32 v57, vcc, 0, v121, vcc
	global_load_dwordx4 v[0:3], v[36:37], off
	global_load_dwordx4 v[4:7], v196, s[12:13]
	v_add_co_u32_e32 v108, vcc, s11, v120
	s_mul_i32 s6, s9, 0x6e0
	v_mad_u64_u32 v[36:37], s[10:11], s8, v38, v[36:37]
	v_add_u32_e32 v37, s6, v37
	v_mad_u64_u32 v[60:61], s[10:11], s8, v38, v[36:37]
	global_load_dwordx4 v[8:11], v196, s[12:13] offset:1760
	global_load_dwordx4 v[12:15], v196, s[12:13] offset:3520
	v_mov_b32_e32 v197, v16
	v_addc_co_u32_e32 v109, vcc, 0, v121, vcc
	global_load_dwordx4 v[40:43], v[52:53], off offset:1184
	global_load_dwordx4 v[44:47], v[52:53], off offset:2944
	;; [unrolled: 1-line block ×8, first 2 shown]
	v_add_u32_e32 v61, s6, v61
	global_load_dwordx4 v[52:55], v[36:37], off
	global_load_dwordx4 v[56:59], v[60:61], off
	v_mad_u64_u32 v[36:37], s[10:11], s8, v38, v[60:61]
	v_add_u32_e32 v37, s6, v37
	v_mad_u64_u32 v[68:69], s[10:11], s8, v38, v[36:37]
	v_add_u32_e32 v69, s6, v69
	global_load_dwordx4 v[60:63], v[36:37], off
	global_load_dwordx4 v[64:67], v[68:69], off
	v_mad_u64_u32 v[36:37], s[10:11], s8, v38, v[68:69]
	v_add_u32_e32 v37, s6, v37
	global_load_dwordx4 v[68:71], v[36:37], off
	v_mad_u64_u32 v[36:37], s[10:11], s8, v38, v[36:37]
	v_add_u32_e32 v37, s6, v37
	;; [unrolled: 3-line block ×6, first 2 shown]
	v_mad_u64_u32 v[96:97], s[10:11], s8, v38, v[36:37]
	global_load_dwordx4 v[88:91], v[36:37], off
	v_add_u32_e32 v97, s6, v97
	v_mad_u64_u32 v[110:111], s[10:11], s8, v38, v[96:97]
	s_movk_i32 s7, 0x5000
	global_load_dwordx4 v[92:95], v[96:97], off
	v_add_u32_e32 v111, s6, v111
	v_add_co_u32_e32 v116, vcc, s7, v120
	global_load_dwordx4 v[96:99], v[110:111], off
	s_nop 0
	v_addc_co_u32_e32 v117, vcc, 0, v121, vcc
	global_load_dwordx4 v[100:103], v[108:109], off offset:2976
	global_load_dwordx4 v[104:107], v[116:117], off offset:640
	v_mad_u64_u32 v[118:119], s[10:11], s8, v38, v[110:111]
	v_add_u32_e32 v119, s6, v119
	s_movk_i32 s7, 0x6000
	global_load_dwordx4 v[108:111], v[118:119], off
	global_load_dwordx4 v[112:115], v[116:117], off offset:2400
	v_mad_u64_u32 v[124:125], s[10:11], s8, v38, v[118:119]
	v_add_co_u32_e32 v136, vcc, s7, v120
	v_add_u32_e32 v125, s6, v125
	s_nop 0
	v_addc_co_u32_e32 v137, vcc, 0, v121, vcc
	global_load_dwordx4 v[116:119], v[124:125], off
	global_load_dwordx4 v[120:123], v[136:137], off offset:64
	v_mad_u64_u32 v[132:133], s[10:11], s8, v38, v[124:125]
	v_add_u32_e32 v133, s6, v133
	global_load_dwordx4 v[124:127], v[132:133], off
	global_load_dwordx4 v[128:131], v[136:137], off offset:1824
	v_mad_u64_u32 v[38:39], s[8:9], s8, v38, v[132:133]
	v_add_u32_e32 v39, s6, v39
	global_load_dwordx4 v[132:135], v[38:39], off
	s_nop 0
	global_load_dwordx4 v[136:139], v[136:137], off offset:3584
	s_waitcnt vmcnt(32)
	v_mul_f64 v[36:37], v[2:3], v[6:7]
	v_mul_f64 v[6:7], v[0:1], v[6:7]
	v_fmac_f64_e32 v[36:37], v[0:1], v[4:5]
	v_fma_f64 v[38:39], v[2:3], v[4:5], -v[6:7]
	ds_write_b128 v196, v[36:39]
	s_waitcnt vmcnt(21)
	v_mul_f64 v[0:1], v[54:55], v[10:11]
	v_mul_f64 v[2:3], v[52:53], v[10:11]
	v_fmac_f64_e32 v[0:1], v[52:53], v[8:9]
	v_fma_f64 v[2:3], v[54:55], v[8:9], -v[2:3]
	ds_write_b128 v196, v[0:3] offset:1760
	s_waitcnt vmcnt(20)
	v_mul_f64 v[0:1], v[58:59], v[14:15]
	v_mul_f64 v[2:3], v[56:57], v[14:15]
	v_fmac_f64_e32 v[0:1], v[56:57], v[12:13]
	v_fma_f64 v[2:3], v[58:59], v[12:13], -v[2:3]
	ds_write_b128 v196, v[0:3] offset:3520
	;; [unrolled: 6-line block ×16, first 2 shown]
.LBB0_3:
	s_or_b64 exec, exec, s[2:3]
	s_load_dwordx2 s[2:3], s[0:1], 0x20
	s_load_dwordx2 s[6:7], s[0:1], 0x8
	s_waitcnt lgkmcnt(0)
	s_barrier
	s_waitcnt lgkmcnt(0)
                                        ; implicit-def: $vgpr24_vgpr25
                                        ; implicit-def: $vgpr28_vgpr29
                                        ; implicit-def: $vgpr32_vgpr33
                                        ; implicit-def: $vgpr36_vgpr37
                                        ; implicit-def: $vgpr40_vgpr41
                                        ; implicit-def: $vgpr44_vgpr45
                                        ; implicit-def: $vgpr48_vgpr49
                                        ; implicit-def: $vgpr52_vgpr53
                                        ; implicit-def: $vgpr56_vgpr57
                                        ; implicit-def: $vgpr60_vgpr61
                                        ; implicit-def: $vgpr64_vgpr65
                                        ; implicit-def: $vgpr68_vgpr69
                                        ; implicit-def: $vgpr72_vgpr73
                                        ; implicit-def: $vgpr76_vgpr77
                                        ; implicit-def: $vgpr80_vgpr81
                                        ; implicit-def: $vgpr84_vgpr85
                                        ; implicit-def: $vgpr88_vgpr89
	s_and_saveexec_b64 s[0:1], s[4:5]
	s_cbranch_execz .LBB0_5
; %bb.4:
	ds_read_b128 v[24:27], v196
	ds_read_b128 v[28:31], v196 offset:1760
	ds_read_b128 v[32:35], v196 offset:3520
	;; [unrolled: 1-line block ×16, first 2 shown]
.LBB0_5:
	s_or_b64 exec, exec, s[0:1]
	s_mov_b32 s30, 0x5d8e7cdc
	s_waitcnt lgkmcnt(0)
	v_add_f64 v[92:93], v[30:31], -v[90:91]
	s_mov_b32 s0, 0x370991
	s_mov_b32 s31, 0xbfd71e95
	;; [unrolled: 1-line block ×3, first 2 shown]
	v_add_f64 v[128:129], v[28:29], v[88:89]
	v_add_f64 v[96:97], v[28:29], -v[88:89]
	s_mov_b32 s1, 0x3fedd6d0
	v_mul_f64 v[10:11], v[92:93], s[30:31]
	s_mov_b32 s16, 0x75d4884
	s_mov_b32 s35, 0xbfe58eea
	v_add_f64 v[94:95], v[34:35], -v[86:87]
	v_add_f64 v[132:133], v[30:31], v[90:91]
	v_mul_f64 v[12:13], v[96:97], s[30:31]
	v_fma_f64 v[0:1], s[0:1], v[128:129], v[10:11]
	s_mov_b32 s17, 0x3fe7a5f6
	s_mov_b32 s36, 0x7c9e640b
	v_add_f64 v[140:141], v[32:33], v[84:85]
	v_add_f64 v[98:99], v[32:33], -v[84:85]
	v_mul_f64 v[14:15], v[94:95], s[34:35]
	v_add_f64 v[0:1], v[24:25], v[0:1]
	v_fma_f64 v[2:3], v[132:133], s[0:1], -v[12:13]
	s_mov_b32 s8, 0x2b2883cd
	s_mov_b32 s37, 0xbfeca52d
	v_add_f64 v[142:143], v[34:35], v[86:87]
	v_mul_f64 v[16:17], v[98:99], s[34:35]
	v_fma_f64 v[4:5], s[16:17], v[140:141], v[14:15]
	v_add_f64 v[106:107], v[38:39], -v[82:83]
	v_add_f64 v[2:3], v[26:27], v[2:3]
	s_mov_b32 s9, 0x3fdc86fa
	s_mov_b32 s26, 0xeb564b22
	v_add_f64 v[0:1], v[4:5], v[0:1]
	v_fma_f64 v[4:5], v[142:143], s[16:17], -v[16:17]
	v_add_f64 v[148:149], v[36:37], v[80:81]
	v_add_f64 v[104:105], v[36:37], -v[80:81]
	v_mul_f64 v[18:19], v[106:107], s[36:37]
	s_mov_b32 s18, 0x3259b75e
	s_mov_b32 s27, 0xbfefdd0d
	v_add_f64 v[2:3], v[4:5], v[2:3]
	v_add_f64 v[150:151], v[38:39], v[82:83]
	v_mul_f64 v[20:21], v[104:105], s[36:37]
	v_fma_f64 v[4:5], s[8:9], v[148:149], v[18:19]
	v_add_f64 v[110:111], v[42:43], -v[78:79]
	s_mov_b32 s19, 0x3fb79ee6
	s_mov_b32 s28, 0x923c349f
	v_add_f64 v[0:1], v[4:5], v[0:1]
	v_fma_f64 v[4:5], v[150:151], s[8:9], -v[20:21]
	v_add_f64 v[154:155], v[40:41], v[76:77]
	v_add_f64 v[108:109], v[40:41], -v[76:77]
	v_mul_f64 v[22:23], v[110:111], s[26:27]
	s_mov_b32 s10, 0xc61f0d01
	s_mov_b32 s29, 0xbfeec746
	v_add_f64 v[2:3], v[4:5], v[2:3]
	v_add_f64 v[156:157], v[42:43], v[78:79]
	v_mul_f64 v[152:153], v[108:109], s[26:27]
	v_fma_f64 v[4:5], s[18:19], v[154:155], v[22:23]
	v_add_f64 v[114:115], v[46:47], -v[74:75]
	s_mov_b32 s11, 0xbfd183b1
	v_add_f64 v[0:1], v[4:5], v[0:1]
	v_fma_f64 v[4:5], v[156:157], s[18:19], -v[152:153]
	v_add_f64 v[160:161], v[44:45], v[72:73]
	v_mul_f64 v[158:159], v[114:115], s[28:29]
	v_add_f64 v[112:113], v[44:45], -v[72:73]
	v_add_f64 v[2:3], v[4:5], v[2:3]
	v_fma_f64 v[4:5], s[10:11], v[160:161], v[158:159]
	v_add_f64 v[164:165], v[46:47], v[74:75]
	v_mul_f64 v[166:167], v[112:113], s[28:29]
	s_mov_b32 s40, 0x6c9a05f6
	v_add_f64 v[0:1], v[4:5], v[0:1]
	v_fma_f64 v[4:5], v[164:165], s[10:11], -v[166:167]
	s_mov_b32 s41, 0xbfe9895b
	v_add_f64 v[130:131], v[50:51], -v[70:71]
	v_add_f64 v[2:3], v[4:5], v[2:3]
	s_mov_b32 s20, 0x6ed5f1bb
	v_mul_f64 v[4:5], v[130:131], s[40:41]
	s_mov_b32 s21, 0xbfe348c8
	v_add_f64 v[168:169], v[48:49], v[68:69]
	v_accvgpr_write_b32 a27, v5
	v_accvgpr_write_b32 a26, v4
	v_fma_f64 v[4:5], s[20:21], v[168:169], v[4:5]
	v_add_f64 v[254:255], v[48:49], -v[68:69]
	v_add_f64 v[0:1], v[4:5], v[0:1]
	v_mul_f64 v[4:5], v[254:255], s[40:41]
	v_add_f64 v[170:171], v[50:51], v[70:71]
	v_accvgpr_write_b32 a29, v5
	s_mov_b32 s42, 0x4363dd80
	v_accvgpr_write_b32 a28, v4
	v_fma_f64 v[4:5], v[170:171], s[20:21], -v[4:5]
	s_mov_b32 s43, 0xbfe0d888
	v_add_f64 v[172:173], v[54:55], -v[66:67]
	v_add_f64 v[2:3], v[4:5], v[2:3]
	s_mov_b32 s22, 0x910ea3b9
	v_mul_f64 v[4:5], v[172:173], s[42:43]
	s_mov_b32 s23, 0xbfeb34fa
	v_add_f64 v[174:175], v[52:53], v[64:65]
	v_accvgpr_write_b32 a31, v5
	v_accvgpr_write_b32 a30, v4
	v_fma_f64 v[4:5], s[22:23], v[174:175], v[4:5]
	v_add_f64 v[162:163], v[52:53], -v[64:65]
	v_add_f64 v[0:1], v[4:5], v[0:1]
	v_mul_f64 v[4:5], v[162:163], s[42:43]
	v_add_f64 v[178:179], v[54:55], v[66:67]
	v_accvgpr_write_b32 a33, v5
	s_mov_b32 s44, 0xacd6c6b4
	v_accvgpr_write_b32 a32, v4
	v_fma_f64 v[4:5], v[178:179], s[22:23], -v[4:5]
	s_mov_b32 s45, 0xbfc7851a
	v_add_f64 v[194:195], v[58:59], -v[62:63]
	v_add_f64 v[2:3], v[4:5], v[2:3]
	s_mov_b32 s24, 0x7faef3
	v_mul_f64 v[4:5], v[194:195], s[44:45]
	s_mov_b32 s25, 0xbfef7484
	v_add_f64 v[190:191], v[56:57], v[60:61]
	v_accvgpr_write_b32 a35, v5
	v_accvgpr_write_b32 a34, v4
	v_fma_f64 v[4:5], s[24:25], v[190:191], v[4:5]
	v_add_f64 v[192:193], v[56:57], -v[60:61]
	v_add_f64 v[4:5], v[4:5], v[0:1]
	v_mul_f64 v[0:1], v[192:193], s[44:45]
	v_add_f64 v[200:201], v[58:59], v[62:63]
	v_accvgpr_write_b32 a37, v1
	v_accvgpr_write_b32 a36, v0
	v_fma_f64 v[0:1], v[200:201], s[24:25], -v[0:1]
	v_add_f64 v[6:7], v[0:1], v[2:3]
	v_mul_f64 v[0:1], v[92:93], s[34:35]
	v_accvgpr_write_b32 a39, v1
	v_mul_f64 v[2:3], v[94:95], s[26:27]
	v_accvgpr_write_b32 a38, v0
	v_fma_f64 v[0:1], s[16:17], v[128:129], v[0:1]
	v_accvgpr_write_b32 a41, v3
	v_add_f64 v[0:1], v[24:25], v[0:1]
	v_accvgpr_write_b32 a40, v2
	v_fma_f64 v[2:3], s[18:19], v[140:141], v[2:3]
	v_accvgpr_write_b32 a2, v4
	v_add_f64 v[0:1], v[2:3], v[0:1]
	v_mul_f64 v[2:3], v[96:97], s[34:35]
	v_accvgpr_write_b32 a3, v5
	v_accvgpr_write_b32 a4, v6
	;; [unrolled: 1-line block ×4, first 2 shown]
	v_mul_f64 v[4:5], v[98:99], s[26:27]
	v_accvgpr_write_b32 a46, v2
	v_fma_f64 v[2:3], v[132:133], s[16:17], -v[2:3]
	v_accvgpr_write_b32 a49, v5
	v_add_f64 v[2:3], v[26:27], v[2:3]
	v_accvgpr_write_b32 a48, v4
	v_fma_f64 v[4:5], v[142:143], s[18:19], -v[4:5]
	v_add_f64 v[2:3], v[4:5], v[2:3]
	v_mul_f64 v[4:5], v[106:107], s[40:41]
	v_accvgpr_write_b32 a43, v5
	v_accvgpr_write_b32 a42, v4
	v_fma_f64 v[4:5], s[20:21], v[148:149], v[4:5]
	v_add_f64 v[0:1], v[4:5], v[0:1]
	v_mul_f64 v[4:5], v[104:105], s[40:41]
	v_accvgpr_write_b32 a53, v5
	v_accvgpr_write_b32 a52, v4
	v_fma_f64 v[4:5], v[150:151], s[20:21], -v[4:5]
	v_add_f64 v[2:3], v[4:5], v[2:3]
	v_mul_f64 v[4:5], v[110:111], s[44:45]
	v_accvgpr_write_b32 a45, v5
	v_accvgpr_write_b32 a44, v4
	v_fma_f64 v[4:5], s[24:25], v[154:155], v[4:5]
	v_add_f64 v[0:1], v[4:5], v[0:1]
	v_mul_f64 v[4:5], v[108:109], s[44:45]
	v_accvgpr_write_b32 a57, v5
	v_accvgpr_write_b32 a56, v4
	v_fma_f64 v[4:5], v[156:157], s[24:25], -v[4:5]
	s_mov_b32 s55, 0x3fe0d888
	s_mov_b32 s54, s42
	v_add_f64 v[2:3], v[4:5], v[2:3]
	v_mul_f64 v[4:5], v[114:115], s[54:55]
	v_accvgpr_write_b32 a51, v5
	v_accvgpr_write_b32 a50, v4
	v_fma_f64 v[4:5], s[22:23], v[160:161], v[4:5]
	v_add_f64 v[0:1], v[4:5], v[0:1]
	v_mul_f64 v[4:5], v[112:113], s[54:55]
	v_accvgpr_write_b32 a61, v5
	v_accvgpr_write_b32 a60, v4
	v_fma_f64 v[4:5], v[164:165], s[22:23], -v[4:5]
	s_mov_b32 s53, 0x3feec746
	s_mov_b32 s52, s28
	;; [unrolled: 12-line block ×4, first 2 shown]
	v_add_f64 v[2:3], v[4:5], v[2:3]
	v_mul_f64 v[4:5], v[194:195], s[48:49]
	v_accvgpr_write_b32 a63, v5
	v_accvgpr_write_b32 a62, v4
	v_fma_f64 v[4:5], s[0:1], v[190:191], v[4:5]
	v_add_f64 v[4:5], v[4:5], v[0:1]
	v_mul_f64 v[0:1], v[192:193], s[48:49]
	v_accvgpr_write_b32 a69, v1
	v_accvgpr_write_b32 a68, v0
	v_fma_f64 v[0:1], v[200:201], s[0:1], -v[0:1]
	v_add_f64 v[6:7], v[0:1], v[2:3]
	v_mul_f64 v[0:1], v[92:93], s[36:37]
	v_accvgpr_write_b32 a71, v1
	v_mul_f64 v[2:3], v[94:95], s[40:41]
	v_accvgpr_write_b32 a70, v0
	v_fma_f64 v[0:1], s[8:9], v[128:129], v[0:1]
	v_accvgpr_write_b32 a73, v3
	v_add_f64 v[0:1], v[24:25], v[0:1]
	v_accvgpr_write_b32 a72, v2
	v_fma_f64 v[2:3], s[20:21], v[140:141], v[2:3]
	v_accvgpr_write_b32 a9, v7
	v_add_f64 v[0:1], v[2:3], v[0:1]
	v_mul_f64 v[2:3], v[96:97], s[36:37]
	v_accvgpr_write_b32 a8, v6
	v_accvgpr_write_b32 a7, v5
	;; [unrolled: 1-line block ×4, first 2 shown]
	v_mul_f64 v[4:5], v[98:99], s[40:41]
	v_accvgpr_write_b32 a84, v2
	v_fma_f64 v[2:3], v[132:133], s[8:9], -v[2:3]
	v_accvgpr_write_b32 a89, v5
	v_add_f64 v[2:3], v[26:27], v[2:3]
	v_accvgpr_write_b32 a88, v4
	v_fma_f64 v[4:5], v[142:143], s[20:21], -v[4:5]
	s_mov_b32 s57, 0x3fc7851a
	s_mov_b32 s56, s44
	v_add_f64 v[2:3], v[4:5], v[2:3]
	v_mul_f64 v[4:5], v[106:107], s[56:57]
	v_accvgpr_write_b32 a75, v5
	v_accvgpr_write_b32 a74, v4
	v_fma_f64 v[4:5], s[24:25], v[148:149], v[4:5]
	v_add_f64 v[0:1], v[4:5], v[0:1]
	v_mul_f64 v[4:5], v[104:105], s[56:57]
	v_accvgpr_write_b32 a91, v5
	v_accvgpr_write_b32 a90, v4
	v_fma_f64 v[4:5], v[150:151], s[24:25], -v[4:5]
	v_add_f64 v[2:3], v[4:5], v[2:3]
	v_mul_f64 v[4:5], v[110:111], s[52:53]
	v_accvgpr_write_b32 a77, v5
	v_accvgpr_write_b32 a76, v4
	v_fma_f64 v[4:5], s[10:11], v[154:155], v[4:5]
	v_add_f64 v[0:1], v[4:5], v[0:1]
	v_mul_f64 v[4:5], v[108:109], s[52:53]
	v_accvgpr_write_b32 a93, v5
	v_accvgpr_write_b32 a92, v4
	v_fma_f64 v[4:5], v[156:157], s[10:11], -v[4:5]
	s_mov_b32 s51, 0x3fe58eea
	s_mov_b32 s50, s34
	v_add_f64 v[2:3], v[4:5], v[2:3]
	v_mul_f64 v[4:5], v[114:115], s[50:51]
	v_accvgpr_write_b32 a79, v5
	v_accvgpr_write_b32 a78, v4
	v_fma_f64 v[4:5], s[16:17], v[160:161], v[4:5]
	v_add_f64 v[0:1], v[4:5], v[0:1]
	v_mul_f64 v[4:5], v[112:113], s[50:51]
	v_accvgpr_write_b32 a95, v5
	v_accvgpr_write_b32 a94, v4
	v_fma_f64 v[4:5], v[164:165], s[16:17], -v[4:5]
	v_add_f64 v[2:3], v[4:5], v[2:3]
	v_mul_f64 v[4:5], v[130:131], s[30:31]
	v_accvgpr_write_b32 a81, v5
	v_accvgpr_write_b32 a80, v4
	v_fma_f64 v[4:5], s[0:1], v[168:169], v[4:5]
	v_add_f64 v[0:1], v[4:5], v[0:1]
	v_mul_f64 v[4:5], v[254:255], s[30:31]
	v_accvgpr_write_b32 a97, v5
	v_accvgpr_write_b32 a96, v4
	v_fma_f64 v[4:5], v[170:171], s[0:1], -v[4:5]
	;; [unrolled: 10-line block ×4, first 2 shown]
	v_add_f64 v[6:7], v[0:1], v[2:3]
	v_mul_f64 v[0:1], v[92:93], s[26:27]
	v_accvgpr_write_b32 a103, v1
	v_mul_f64 v[2:3], v[94:95], s[44:45]
	v_accvgpr_write_b32 a102, v0
	v_fma_f64 v[0:1], s[18:19], v[128:129], v[0:1]
	v_accvgpr_write_b32 a105, v3
	v_add_f64 v[0:1], v[24:25], v[0:1]
	v_accvgpr_write_b32 a104, v2
	v_fma_f64 v[2:3], s[24:25], v[140:141], v[2:3]
	v_accvgpr_write_b32 a13, v7
	v_add_f64 v[0:1], v[2:3], v[0:1]
	v_mul_f64 v[2:3], v[96:97], s[26:27]
	v_accvgpr_write_b32 a12, v6
	v_accvgpr_write_b32 a11, v5
	;; [unrolled: 1-line block ×4, first 2 shown]
	v_mul_f64 v[4:5], v[98:99], s[44:45]
	v_accvgpr_write_b32 a110, v2
	v_fma_f64 v[2:3], v[132:133], s[18:19], -v[2:3]
	v_accvgpr_write_b32 a115, v5
	v_add_f64 v[2:3], v[26:27], v[2:3]
	v_accvgpr_write_b32 a114, v4
	v_fma_f64 v[4:5], v[142:143], s[24:25], -v[4:5]
	v_add_f64 v[2:3], v[4:5], v[2:3]
	v_mul_f64 v[4:5], v[106:107], s[52:53]
	v_accvgpr_write_b32 a107, v5
	v_accvgpr_write_b32 a106, v4
	v_fma_f64 v[4:5], s[10:11], v[148:149], v[4:5]
	v_add_f64 v[0:1], v[4:5], v[0:1]
	v_mul_f64 v[4:5], v[104:105], s[52:53]
	v_accvgpr_write_b32 a119, v5
	v_accvgpr_write_b32 a118, v4
	v_fma_f64 v[4:5], v[150:151], s[10:11], -v[4:5]
	v_add_f64 v[2:3], v[4:5], v[2:3]
	v_mul_f64 v[4:5], v[110:111], s[48:49]
	v_accvgpr_write_b32 a109, v5
	v_accvgpr_write_b32 a108, v4
	v_fma_f64 v[4:5], s[0:1], v[154:155], v[4:5]
	v_add_f64 v[0:1], v[4:5], v[0:1]
	v_mul_f64 v[4:5], v[108:109], s[48:49]
	v_accvgpr_write_b32 a123, v5
	;; [unrolled: 10-line block ×4, first 2 shown]
	v_accvgpr_write_b32 a128, v4
	v_fma_f64 v[4:5], v[170:171], s[22:23], -v[4:5]
	s_mov_b32 s61, 0x3fe9895b
	s_mov_b32 s60, s40
	v_add_f64 v[2:3], v[4:5], v[2:3]
	v_mul_f64 v[4:5], v[172:173], s[60:61]
	v_accvgpr_write_b32 a121, v5
	v_accvgpr_write_b32 a120, v4
	v_fma_f64 v[4:5], s[20:21], v[174:175], v[4:5]
	v_add_f64 v[0:1], v[4:5], v[0:1]
	v_mul_f64 v[4:5], v[162:163], s[60:61]
	v_accvgpr_write_b32 a131, v5
	v_accvgpr_write_b32 a130, v4
	v_fma_f64 v[4:5], v[178:179], s[20:21], -v[4:5]
	v_add_f64 v[2:3], v[4:5], v[2:3]
	v_mul_f64 v[4:5], v[194:195], s[50:51]
	v_accvgpr_write_b32 a125, v5
	v_accvgpr_write_b32 a124, v4
	v_fma_f64 v[4:5], s[16:17], v[190:191], v[4:5]
	v_add_f64 v[4:5], v[4:5], v[0:1]
	v_mul_f64 v[0:1], v[192:193], s[50:51]
	v_accvgpr_write_b32 a133, v1
	v_accvgpr_write_b32 a132, v0
	v_fma_f64 v[0:1], v[200:201], s[16:17], -v[0:1]
	v_mul_f64 v[176:177], v[92:93], s[28:29]
	v_add_f64 v[6:7], v[0:1], v[2:3]
	v_fma_f64 v[0:1], s[10:11], v[128:129], v[176:177]
	v_mul_f64 v[180:181], v[94:95], s[54:55]
	v_add_f64 v[0:1], v[24:25], v[0:1]
	v_fma_f64 v[2:3], s[22:23], v[140:141], v[180:181]
	v_mul_f64 v[186:187], v[96:97], s[28:29]
	v_accvgpr_write_b32 a17, v7
	v_add_f64 v[0:1], v[2:3], v[0:1]
	v_fma_f64 v[2:3], v[132:133], s[10:11], -v[186:187]
	v_mul_f64 v[202:203], v[98:99], s[54:55]
	v_accvgpr_write_b32 a16, v6
	v_accvgpr_write_b32 a15, v5
	;; [unrolled: 1-line block ×3, first 2 shown]
	v_add_f64 v[2:3], v[26:27], v[2:3]
	v_fma_f64 v[4:5], v[142:143], s[22:23], -v[202:203]
	v_mul_f64 v[182:183], v[106:107], s[50:51]
	v_add_f64 v[2:3], v[4:5], v[2:3]
	v_fma_f64 v[4:5], s[16:17], v[148:149], v[182:183]
	v_mul_f64 v[206:207], v[104:105], s[50:51]
	v_add_f64 v[0:1], v[4:5], v[0:1]
	v_fma_f64 v[4:5], v[150:151], s[16:17], -v[206:207]
	v_mul_f64 v[184:185], v[110:111], s[36:37]
	v_add_f64 v[2:3], v[4:5], v[2:3]
	v_fma_f64 v[4:5], s[8:9], v[154:155], v[184:185]
	v_mul_f64 v[210:211], v[108:109], s[36:37]
	;; [unrolled: 6-line block ×3, first 2 shown]
	s_mov_b32 s59, 0x3fefdd0d
	s_mov_b32 s58, s26
	v_add_f64 v[0:1], v[4:5], v[0:1]
	v_fma_f64 v[4:5], v[164:165], s[24:25], -v[214:215]
	v_mul_f64 v[204:205], v[130:131], s[58:59]
	v_add_f64 v[2:3], v[4:5], v[2:3]
	v_fma_f64 v[4:5], s[18:19], v[168:169], v[204:205]
	v_mul_f64 v[216:217], v[254:255], s[58:59]
	v_add_f64 v[0:1], v[4:5], v[0:1]
	v_fma_f64 v[4:5], v[170:171], s[18:19], -v[216:217]
	v_mul_f64 v[208:209], v[172:173], s[30:31]
	v_add_f64 v[2:3], v[4:5], v[2:3]
	v_fma_f64 v[4:5], s[0:1], v[174:175], v[208:209]
	v_mul_f64 v[218:219], v[162:163], s[30:31]
	;; [unrolled: 6-line block ×4, first 2 shown]
	v_add_f64 v[0:1], v[24:25], v[0:1]
	v_fma_f64 v[2:3], s[10:11], v[140:141], v[224:225]
	v_mul_f64 v[230:231], v[96:97], s[40:41]
	v_accvgpr_write_b32 a21, v7
	v_add_f64 v[0:1], v[2:3], v[0:1]
	v_fma_f64 v[2:3], v[132:133], s[20:21], -v[230:231]
	v_mul_f64 v[234:235], v[98:99], s[52:53]
	v_accvgpr_write_b32 a20, v6
	v_accvgpr_write_b32 a19, v5
	v_accvgpr_write_b32 a18, v4
	v_add_f64 v[2:3], v[26:27], v[2:3]
	v_fma_f64 v[4:5], v[142:143], s[10:11], -v[234:235]
	v_mul_f64 v[226:227], v[106:107], s[30:31]
	v_add_f64 v[2:3], v[4:5], v[2:3]
	v_fma_f64 v[4:5], s[0:1], v[148:149], v[226:227]
	v_mul_f64 v[236:237], v[104:105], s[30:31]
	v_add_f64 v[0:1], v[4:5], v[0:1]
	v_fma_f64 v[4:5], v[150:151], s[0:1], -v[236:237]
	v_mul_f64 v[228:229], v[110:111], s[42:43]
	v_add_f64 v[2:3], v[4:5], v[2:3]
	v_fma_f64 v[4:5], s[22:23], v[154:155], v[228:229]
	v_mul_f64 v[240:241], v[108:109], s[42:43]
	;; [unrolled: 6-line block ×7, first 2 shown]
	v_add_f64 v[0:1], v[24:25], v[0:1]
	v_fma_f64 v[2:3], s[8:9], v[140:141], v[250:251]
	v_mul_f64 v[122:123], v[96:97], s[42:43]
	v_accvgpr_write_b32 a25, v7
	v_add_f64 v[0:1], v[2:3], v[0:1]
	v_fma_f64 v[2:3], v[132:133], s[22:23], -v[122:123]
	v_mul_f64 v[126:127], v[98:99], s[46:47]
	v_accvgpr_write_b32 a24, v6
	v_accvgpr_write_b32 a23, v5
	v_accvgpr_write_b32 a22, v4
	v_add_f64 v[2:3], v[26:27], v[2:3]
	v_fma_f64 v[4:5], v[142:143], s[8:9], -v[126:127]
	v_mul_f64 v[252:253], v[106:107], s[26:27]
	v_add_f64 v[2:3], v[4:5], v[2:3]
	v_fma_f64 v[4:5], s[18:19], v[148:149], v[252:253]
	v_mul_f64 v[136:137], v[104:105], s[26:27]
	v_add_f64 v[0:1], v[4:5], v[0:1]
	v_fma_f64 v[4:5], v[150:151], s[18:19], -v[136:137]
	v_mul_f64 v[120:121], v[110:111], s[60:61]
	v_add_f64 v[2:3], v[4:5], v[2:3]
	v_fma_f64 v[4:5], s[20:21], v[154:155], v[120:121]
	v_add_f64 v[4:5], v[4:5], v[0:1]
	v_mul_f64 v[0:1], v[108:109], s[60:61]
	v_fma_f64 v[6:7], v[156:157], s[20:21], -v[0:1]
	v_mul_f64 v[124:125], v[114:115], s[30:31]
	v_add_f64 v[2:3], v[6:7], v[2:3]
	v_fma_f64 v[6:7], s[0:1], v[160:161], v[124:125]
	v_mul_f64 v[144:145], v[112:113], s[30:31]
	v_add_f64 v[4:5], v[6:7], v[4:5]
	v_fma_f64 v[6:7], v[164:165], s[0:1], -v[144:145]
	v_mul_f64 v[134:135], v[130:131], s[44:45]
	v_add_f64 v[2:3], v[6:7], v[2:3]
	v_fma_f64 v[6:7], s[24:25], v[168:169], v[134:135]
	v_add_f64 v[6:7], v[6:7], v[4:5]
	v_mul_f64 v[4:5], v[254:255], s[44:45]
	v_fma_f64 v[100:101], v[170:171], s[24:25], -v[4:5]
	v_mul_f64 v[138:139], v[172:173], s[50:51]
	v_add_f64 v[2:3], v[100:101], v[2:3]
	v_fma_f64 v[100:101], s[16:17], v[174:175], v[138:139]
	v_add_f64 v[100:101], v[100:101], v[6:7]
	v_mul_f64 v[6:7], v[162:163], s[50:51]
	v_fma_f64 v[102:103], v[178:179], s[16:17], -v[6:7]
	v_add_f64 v[102:103], v[102:103], v[2:3]
	v_mul_f64 v[2:3], v[194:195], s[28:29]
	v_fma_f64 v[146:147], s[10:11], v[190:191], v[2:3]
	v_add_f64 v[100:101], v[146:147], v[100:101]
	v_mul_f64 v[146:147], v[192:193], s[28:29]
	v_fma_f64 v[8:9], v[200:201], s[10:11], -v[146:147]
	v_add_f64 v[102:103], v[8:9], v[102:103]
	v_mul_lo_u16_e32 v8, 17, v197
	v_accvgpr_write_b32 a1, v8
	s_barrier
	s_and_saveexec_b64 s[38:39], s[4:5]
	s_cbranch_execz .LBB0_7
; %bb.6:
	v_mul_f64 v[8:9], v[132:133], s[24:25]
	v_accvgpr_write_b32 a135, v11
	v_accvgpr_write_b32 a144, v152
	;; [unrolled: 1-line block ×3, first 2 shown]
	v_fma_f64 v[10:11], s[56:57], v[96:97], v[8:9]
	v_accvgpr_write_b32 a145, v153
	v_mul_f64 v[152:153], v[142:143], s[0:1]
	v_accvgpr_write_b32 a143, v13
	v_add_f64 v[10:11], v[26:27], v[10:11]
	v_accvgpr_write_b32 a142, v12
	v_fma_f64 v[12:13], s[30:31], v[98:99], v[152:153]
	v_add_f64 v[10:11], v[12:13], v[10:11]
	v_mul_f64 v[12:13], v[150:151], s[22:23]
	v_accvgpr_write_b32 a137, v15
	v_accvgpr_write_b32 a136, v14
	v_fma_f64 v[14:15], s[54:55], v[104:105], v[12:13]
	v_add_f64 v[10:11], v[14:15], v[10:11]
	v_mul_f64 v[14:15], v[156:157], s[16:17]
	v_accvgpr_write_b32 a147, v17
	;; [unrolled: 5-line block ×5, first 2 shown]
	v_accvgpr_write_b32 a151, v23
	v_fmac_f64_e32 v[8:9], s[44:45], v[96:97]
	v_accvgpr_write_b32 a148, v20
	v_fma_f64 v[20:21], s[52:53], v[162:163], v[158:159]
	v_accvgpr_write_b32 a150, v22
	v_mul_f64 v[22:23], v[92:93], s[44:45]
	v_fmac_f64_e32 v[152:153], s[48:49], v[98:99]
	v_add_f64 v[8:9], v[26:27], v[8:9]
	v_add_f64 v[10:11], v[20:21], v[10:11]
	v_mul_f64 v[20:21], v[94:95], s[48:49]
	v_fma_f64 v[92:93], s[24:25], v[128:129], v[22:23]
	v_fmac_f64_e32 v[12:13], s[42:43], v[104:105]
	v_add_f64 v[8:9], v[152:153], v[8:9]
	v_add_f64 v[92:93], v[24:25], v[92:93]
	v_fma_f64 v[94:95], s[0:1], v[140:141], v[20:21]
	v_mul_f64 v[106:107], v[106:107], s[42:43]
	v_fmac_f64_e32 v[14:15], s[50:51], v[108:109]
	v_add_f64 v[8:9], v[12:13], v[8:9]
	v_add_f64 v[92:93], v[94:95], v[92:93]
	v_fma_f64 v[94:95], s[22:23], v[148:149], v[106:107]
	v_mul_f64 v[110:111], v[110:111], s[50:51]
	v_add_f64 v[8:9], v[14:15], v[8:9]
	v_fma_f64 v[14:15], v[128:129], s[24:25], -v[22:23]
	v_add_f64 v[92:93], v[94:95], v[92:93]
	v_fma_f64 v[94:95], s[16:17], v[154:155], v[110:111]
	v_mul_f64 v[114:115], v[114:115], s[40:41]
	v_fma_f64 v[12:13], v[140:141], s[0:1], -v[20:21]
	v_add_f64 v[14:15], v[24:25], v[14:15]
	v_add_f64 v[92:93], v[94:95], v[92:93]
	v_fma_f64 v[94:95], s[20:21], v[160:161], v[114:115]
	v_mul_f64 v[130:131], v[130:131], s[46:47]
	v_add_f64 v[12:13], v[12:13], v[14:15]
	v_fma_f64 v[14:15], v[148:149], s[22:23], -v[106:107]
	v_add_f64 v[92:93], v[94:95], v[92:93]
	v_fma_f64 v[94:95], s[8:9], v[168:169], v[130:131]
	v_mul_f64 v[172:173], v[172:173], s[28:29]
	v_accvgpr_write_b32 a152, v166
	v_fmac_f64_e32 v[16:17], s[40:41], v[112:113]
	v_add_f64 v[12:13], v[14:15], v[12:13]
	v_fma_f64 v[14:15], v[154:155], s[16:17], -v[110:111]
	v_add_f64 v[92:93], v[94:95], v[92:93]
	v_fma_f64 v[94:95], s[10:11], v[174:175], v[172:173]
	v_accvgpr_write_b32 a153, v167
	v_mul_f64 v[166:167], v[200:201], s[18:19]
	v_fmac_f64_e32 v[18:19], s[46:47], v[254:255]
	v_add_f64 v[8:9], v[16:17], v[8:9]
	v_add_f64 v[12:13], v[14:15], v[12:13]
	v_fma_f64 v[14:15], v[160:161], s[20:21], -v[114:115]
	v_add_f64 v[92:93], v[94:95], v[92:93]
	v_fma_f64 v[94:95], s[26:27], v[192:193], v[166:167]
	v_fmac_f64_e32 v[158:159], s[28:29], v[162:163]
	v_add_f64 v[8:9], v[18:19], v[8:9]
	v_add_f64 v[12:13], v[14:15], v[12:13]
	v_fma_f64 v[14:15], v[168:169], s[8:9], -v[130:131]
	v_add_f64 v[94:95], v[94:95], v[10:11]
	v_mul_f64 v[10:11], v[194:195], s[58:59]
	v_fmac_f64_e32 v[166:167], s[58:59], v[192:193]
	v_add_f64 v[8:9], v[158:159], v[8:9]
	v_add_f64 v[12:13], v[14:15], v[12:13]
	v_fma_f64 v[14:15], v[174:175], s[10:11], -v[172:173]
	v_add_f64 v[12:13], v[14:15], v[12:13]
	v_add_f64 v[98:99], v[166:167], v[8:9]
	v_fma_f64 v[8:9], v[190:191], s[18:19], -v[10:11]
	v_mul_f64 v[16:17], v[132:133], s[22:23]
	v_add_f64 v[96:97], v[8:9], v[12:13]
	v_mul_f64 v[12:13], v[156:157], s[20:21]
	v_mul_f64 v[14:15], v[142:143], s[8:9]
	v_add_f64 v[16:17], v[122:123], v[16:17]
	v_fma_f64 v[194:195], s[18:19], v[190:191], v[10:11]
	v_mul_f64 v[10:11], v[178:179], s[16:17]
	v_add_f64 v[0:1], v[0:1], v[12:13]
	v_mul_f64 v[12:13], v[150:151], s[18:19]
	v_add_f64 v[14:15], v[126:127], v[14:15]
	v_add_f64 v[16:17], v[26:27], v[16:17]
	;; [unrolled: 1-line block ×3, first 2 shown]
	v_mul_f64 v[10:11], v[170:171], s[24:25]
	v_add_f64 v[12:13], v[136:137], v[12:13]
	v_add_f64 v[14:15], v[14:15], v[16:17]
	v_mul_f64 v[18:19], v[128:129], s[22:23]
	v_add_f64 v[4:5], v[4:5], v[10:11]
	v_mul_f64 v[10:11], v[164:165], s[0:1]
	;; [unrolled: 2-line block ×3, first 2 shown]
	v_add_f64 v[18:19], v[18:19], -v[118:119]
	v_add_f64 v[10:11], v[144:145], v[10:11]
	v_add_f64 v[0:1], v[0:1], v[12:13]
	v_mul_f64 v[14:15], v[148:149], s[18:19]
	v_add_f64 v[16:17], v[16:17], -v[250:251]
	v_add_f64 v[18:19], v[24:25], v[18:19]
	v_add_f64 v[0:1], v[10:11], v[0:1]
	v_mul_f64 v[12:13], v[154:155], s[20:21]
	;; [unrolled: 4-line block ×4, first 2 shown]
	v_add_f64 v[10:11], v[10:11], -v[124:125]
	v_add_f64 v[12:13], v[12:13], v[14:15]
	v_mul_f64 v[14:15], v[132:133], s[20:21]
	v_mul_f64 v[8:9], v[200:201], s[10:11]
	;; [unrolled: 1-line block ×3, first 2 shown]
	v_add_f64 v[6:7], v[6:7], -v[134:135]
	v_add_f64 v[10:11], v[10:11], v[12:13]
	v_mul_f64 v[12:13], v[142:143], s[10:11]
	v_add_f64 v[14:15], v[230:231], v[14:15]
	v_mul_f64 v[18:19], v[128:129], s[20:21]
	v_add_f64 v[8:9], v[146:147], v[8:9]
	v_add_f64 v[2:3], v[4:5], -v[2:3]
	v_mul_f64 v[4:5], v[174:175], s[16:17]
	v_add_f64 v[6:7], v[6:7], v[10:11]
	v_mul_f64 v[10:11], v[150:151], s[0:1]
	v_add_f64 v[12:13], v[234:235], v[12:13]
	v_add_f64 v[14:15], v[26:27], v[14:15]
	v_mul_f64 v[16:17], v[140:141], s[10:11]
	v_add_f64 v[18:19], v[18:19], -v[222:223]
	v_add_f64 v[4:5], v[4:5], -v[138:139]
	v_add_f64 v[106:107], v[8:9], v[0:1]
	v_mul_f64 v[8:9], v[156:157], s[22:23]
	v_add_f64 v[10:11], v[236:237], v[10:11]
	v_add_f64 v[12:13], v[12:13], v[14:15]
	v_mul_f64 v[14:15], v[148:149], s[0:1]
	v_add_f64 v[16:17], v[16:17], -v[224:225]
	v_add_f64 v[18:19], v[24:25], v[18:19]
	v_add_f64 v[4:5], v[4:5], v[6:7]
	v_mul_f64 v[6:7], v[164:165], s[18:19]
	v_add_f64 v[8:9], v[240:241], v[8:9]
	v_add_f64 v[10:11], v[10:11], v[12:13]
	v_mul_f64 v[12:13], v[154:155], s[22:23]
	v_add_f64 v[14:15], v[14:15], -v[226:227]
	v_add_f64 v[16:17], v[16:17], v[18:19]
	;; [unrolled: 7-line block ×3, first 2 shown]
	v_mul_f64 v[2:3], v[178:179], s[24:25]
	v_add_f64 v[4:5], v[246:247], v[4:5]
	v_add_f64 v[6:7], v[6:7], v[8:9]
	v_mul_f64 v[8:9], v[168:169], s[16:17]
	v_add_f64 v[10:11], v[10:11], -v[232:233]
	v_add_f64 v[12:13], v[12:13], v[14:15]
	v_mul_f64 v[14:15], v[132:133], s[10:11]
	v_add_f64 v[2:3], v[248:249], v[2:3]
	v_add_f64 v[4:5], v[4:5], v[6:7]
	v_mul_f64 v[6:7], v[174:175], s[24:25]
	v_add_f64 v[8:9], v[8:9], -v[198:199]
	v_add_f64 v[10:11], v[10:11], v[12:13]
	v_mul_f64 v[12:13], v[142:143], s[22:23]
	v_add_f64 v[14:15], v[186:187], v[14:15]
	v_mul_f64 v[18:19], v[128:129], s[10:11]
	;; [unrolled: 2-line block ×3, first 2 shown]
	v_add_f64 v[6:7], v[6:7], -v[238:239]
	v_add_f64 v[8:9], v[8:9], v[10:11]
	v_mul_f64 v[10:11], v[150:151], s[16:17]
	v_add_f64 v[12:13], v[202:203], v[12:13]
	v_add_f64 v[14:15], v[26:27], v[14:15]
	v_mul_f64 v[16:17], v[140:141], s[22:23]
	v_add_f64 v[18:19], v[18:19], -v[176:177]
	v_add_f64 v[4:5], v[4:5], -v[242:243]
	v_add_f64 v[6:7], v[6:7], v[8:9]
	v_mul_f64 v[8:9], v[156:157], s[8:9]
	v_add_f64 v[10:11], v[206:207], v[10:11]
	v_add_f64 v[12:13], v[12:13], v[14:15]
	v_mul_f64 v[14:15], v[148:149], s[16:17]
	v_add_f64 v[16:17], v[16:17], -v[180:181]
	v_add_f64 v[18:19], v[24:25], v[18:19]
	v_mul_f64 v[0:1], v[200:201], s[8:9]
	v_add_f64 v[108:109], v[4:5], v[6:7]
	v_mul_f64 v[6:7], v[164:165], s[24:25]
	v_add_f64 v[8:9], v[210:211], v[8:9]
	v_add_f64 v[10:11], v[10:11], v[12:13]
	v_mul_f64 v[12:13], v[154:155], s[8:9]
	v_add_f64 v[14:15], v[14:15], -v[182:183]
	v_add_f64 v[16:17], v[16:17], v[18:19]
	v_add_f64 v[0:1], v[116:117], v[0:1]
	v_mul_f64 v[4:5], v[170:171], s[18:19]
	v_add_f64 v[6:7], v[214:215], v[6:7]
	v_add_f64 v[8:9], v[8:9], v[10:11]
	v_mul_f64 v[10:11], v[160:161], s[24:25]
	v_add_f64 v[12:13], v[12:13], -v[184:185]
	v_add_f64 v[14:15], v[14:15], v[16:17]
	;; [unrolled: 7-line block ×3, first 2 shown]
	v_mul_f64 v[0:1], v[200:201], s[20:21]
	v_add_f64 v[2:3], v[218:219], v[2:3]
	v_add_f64 v[4:5], v[4:5], v[6:7]
	v_mul_f64 v[6:7], v[174:175], s[0:1]
	v_add_f64 v[8:9], v[8:9], -v[204:205]
	v_add_f64 v[10:11], v[10:11], v[12:13]
	v_add_f64 v[0:1], v[220:221], v[0:1]
	;; [unrolled: 1-line block ×3, first 2 shown]
	v_mul_f64 v[4:5], v[190:191], s[20:21]
	v_add_f64 v[6:7], v[6:7], -v[208:209]
	v_add_f64 v[8:9], v[8:9], v[10:11]
	v_add_f64 v[4:5], v[4:5], -v[212:213]
	v_add_f64 v[6:7], v[6:7], v[8:9]
	v_add_f64 v[114:115], v[0:1], v[2:3]
	v_accvgpr_read_b32 v2, a132
	v_add_f64 v[112:113], v[4:5], v[6:7]
	v_mul_f64 v[0:1], v[200:201], s[16:17]
	v_accvgpr_read_b32 v3, a133
	v_accvgpr_read_b32 v4, a130
	v_add_f64 v[0:1], v[2:3], v[0:1]
	v_mul_f64 v[2:3], v[178:179], s[20:21]
	v_accvgpr_read_b32 v5, a131
	;; [unrolled: 4-line block ×8, first 2 shown]
	v_add_f64 v[14:15], v[16:17], v[14:15]
	v_add_f64 v[14:15], v[26:27], v[14:15]
	;; [unrolled: 1-line block ×7, first 2 shown]
	v_accvgpr_read_b32 v6, a124
	v_add_f64 v[2:3], v[2:3], v[4:5]
	v_mul_f64 v[4:5], v[190:191], s[16:17]
	v_accvgpr_read_b32 v7, a125
	v_accvgpr_read_b32 v8, a120
	v_add_f64 v[4:5], v[4:5], -v[6:7]
	v_mul_f64 v[6:7], v[174:175], s[20:21]
	v_accvgpr_read_b32 v9, a121
	v_accvgpr_read_b32 v10, a116
	v_add_f64 v[6:7], v[6:7], -v[8:9]
	;; [unrolled: 4-line block ×7, first 2 shown]
	v_mul_f64 v[18:19], v[128:129], s[18:19]
	v_accvgpr_read_b32 v21, a103
	v_add_f64 v[18:19], v[18:19], -v[20:21]
	v_add_f64 v[18:19], v[24:25], v[18:19]
	v_add_f64 v[16:17], v[16:17], v[18:19]
	;; [unrolled: 1-line block ×8, first 2 shown]
	v_accvgpr_read_b32 v2, a100
	v_add_f64 v[116:117], v[4:5], v[6:7]
	v_mul_f64 v[0:1], v[200:201], s[22:23]
	v_accvgpr_read_b32 v3, a101
	v_accvgpr_read_b32 v4, a98
	v_add_f64 v[0:1], v[2:3], v[0:1]
	v_mul_f64 v[2:3], v[178:179], s[18:19]
	v_accvgpr_read_b32 v5, a99
	v_accvgpr_read_b32 v6, a96
	v_add_f64 v[2:3], v[4:5], v[2:3]
	v_mul_f64 v[4:5], v[170:171], s[0:1]
	v_accvgpr_read_b32 v7, a97
	v_accvgpr_read_b32 v8, a94
	v_add_f64 v[4:5], v[6:7], v[4:5]
	v_mul_f64 v[6:7], v[164:165], s[16:17]
	v_accvgpr_read_b32 v9, a95
	v_accvgpr_read_b32 v10, a92
	v_add_f64 v[6:7], v[8:9], v[6:7]
	v_mul_f64 v[8:9], v[156:157], s[10:11]
	v_accvgpr_read_b32 v11, a93
	v_accvgpr_read_b32 v12, a90
	v_add_f64 v[8:9], v[10:11], v[8:9]
	v_mul_f64 v[10:11], v[150:151], s[24:25]
	v_accvgpr_read_b32 v13, a91
	v_accvgpr_read_b32 v14, a88
	v_add_f64 v[10:11], v[12:13], v[10:11]
	v_mul_f64 v[12:13], v[142:143], s[20:21]
	v_accvgpr_read_b32 v15, a89
	v_accvgpr_read_b32 v16, a84
	v_add_f64 v[12:13], v[14:15], v[12:13]
	v_mul_f64 v[14:15], v[132:133], s[8:9]
	v_accvgpr_read_b32 v17, a85
	v_add_f64 v[14:15], v[16:17], v[14:15]
	v_add_f64 v[14:15], v[26:27], v[14:15]
	;; [unrolled: 1-line block ×7, first 2 shown]
	v_accvgpr_read_b32 v123, a87
	v_add_f64 v[2:3], v[2:3], v[4:5]
	v_mul_f64 v[4:5], v[190:191], s[22:23]
	v_accvgpr_read_b32 v122, a86
	v_accvgpr_read_b32 v125, a83
	v_add_f64 v[4:5], v[4:5], -v[122:123]
	v_mul_f64 v[122:123], v[174:175], s[18:19]
	v_accvgpr_read_b32 v124, a82
	v_accvgpr_read_b32 v127, a81
	v_mul_f64 v[16:17], v[128:129], s[0:1]
	v_mul_f64 v[12:13], v[128:129], s[16:17]
	;; [unrolled: 1-line block ×6, first 2 shown]
	v_add_f64 v[122:123], v[122:123], -v[124:125]
	v_mul_f64 v[124:125], v[168:169], s[0:1]
	v_accvgpr_read_b32 v126, a80
	v_accvgpr_read_b32 v129, a79
	;; [unrolled: 1-line block ×3, first 2 shown]
	v_add_f64 v[124:125], v[124:125], -v[126:127]
	v_mul_f64 v[126:127], v[160:161], s[16:17]
	v_accvgpr_read_b32 v128, a78
	v_accvgpr_read_b32 v131, a77
	;; [unrolled: 1-line block ×4, first 2 shown]
	v_mul_f64 v[14:15], v[132:133], s[0:1]
	v_mul_f64 v[18:19], v[132:133], s[16:17]
	v_add_f64 v[126:127], v[126:127], -v[128:129]
	v_mul_f64 v[128:129], v[154:155], s[10:11]
	v_accvgpr_read_b32 v130, a76
	v_accvgpr_read_b32 v133, a75
	;; [unrolled: 1-line block ×3, first 2 shown]
	v_add_f64 v[20:21], v[20:21], -v[140:141]
	v_add_f64 v[128:129], v[128:129], -v[130:131]
	v_mul_f64 v[130:131], v[148:149], s[24:25]
	v_accvgpr_read_b32 v132, a74
	v_add_f64 v[120:121], v[120:121], -v[134:135]
	v_add_f64 v[20:21], v[24:25], v[20:21]
	v_add_f64 v[130:131], v[130:131], -v[132:133]
	v_add_f64 v[20:21], v[120:121], v[20:21]
	v_add_f64 v[20:21], v[130:131], v[20:21]
	;; [unrolled: 1-line block ×4, first 2 shown]
	v_mul_f64 v[132:133], v[148:149], s[8:9]
	v_mul_f64 v[136:137], v[148:149], s[20:21]
	;; [unrolled: 1-line block ×4, first 2 shown]
	v_add_f64 v[20:21], v[124:125], v[20:21]
	v_accvgpr_read_b32 v165, a67
	v_add_f64 v[20:21], v[122:123], v[20:21]
	v_mul_f64 v[122:123], v[178:179], s[8:9]
	v_accvgpr_read_b32 v164, a66
	v_add_f64 v[122:123], v[164:165], v[122:123]
	v_accvgpr_read_b32 v165, a65
	v_mul_f64 v[152:153], v[170:171], s[10:11]
	v_accvgpr_read_b32 v164, a64
	v_add_f64 v[152:153], v[164:165], v[152:153]
	v_accvgpr_read_b32 v165, a61
	v_accvgpr_read_b32 v164, a60
	v_add_f64 v[148:149], v[164:165], v[148:149]
	v_accvgpr_read_b32 v165, a57
	v_mul_f64 v[144:145], v[156:157], s[24:25]
	v_accvgpr_read_b32 v164, a56
	v_add_f64 v[144:145], v[164:165], v[144:145]
	v_accvgpr_read_b32 v165, a53
	v_mul_f64 v[138:139], v[150:151], s[20:21]
	;; [unrolled: 4-line block ×3, first 2 shown]
	v_accvgpr_read_b32 v164, a48
	v_add_f64 v[6:7], v[164:165], v[6:7]
	v_accvgpr_read_b32 v165, a47
	v_accvgpr_read_b32 v164, a46
	v_add_f64 v[18:19], v[164:165], v[18:19]
	v_add_f64 v[18:19], v[26:27], v[18:19]
	;; [unrolled: 1-line block ×5, first 2 shown]
	v_accvgpr_read_b32 v145, a45
	v_mul_f64 v[8:9], v[142:143], s[16:17]
	v_mul_f64 v[142:143], v[154:155], s[24:25]
	v_accvgpr_read_b32 v144, a44
	v_add_f64 v[142:143], v[142:143], -v[144:145]
	v_accvgpr_read_b32 v145, a43
	v_accvgpr_read_b32 v144, a42
	v_add_f64 v[136:137], v[136:137], -v[144:145]
	v_accvgpr_read_b32 v145, a41
	;; [unrolled: 3-line block ×3, first 2 shown]
	v_add_f64 v[6:7], v[148:149], v[6:7]
	v_accvgpr_read_b32 v144, a38
	v_add_f64 v[6:7], v[152:153], v[6:7]
	v_add_f64 v[12:13], v[12:13], -v[144:145]
	v_add_f64 v[6:7], v[122:123], v[6:7]
	v_accvgpr_read_b32 v123, a59
	v_add_f64 v[12:13], v[24:25], v[12:13]
	v_add_f64 v[2:3], v[0:1], v[2:3]
	;; [unrolled: 1-line block ×3, first 2 shown]
	v_mul_f64 v[4:5], v[174:175], s[8:9]
	v_accvgpr_read_b32 v122, a58
	v_accvgpr_read_b32 v139, a51
	v_add_f64 v[12:13], v[22:23], v[12:13]
	v_mul_f64 v[146:147], v[160:161], s[22:23]
	v_add_f64 v[4:5], v[4:5], -v[122:123]
	v_accvgpr_read_b32 v123, a55
	v_accvgpr_read_b32 v138, a50
	v_add_f64 v[12:13], v[136:137], v[12:13]
	v_mul_f64 v[134:135], v[150:151], s[8:9]
	v_mul_f64 v[150:151], v[168:169], s[10:11]
	v_accvgpr_read_b32 v122, a54
	v_add_f64 v[138:139], v[146:147], -v[138:139]
	v_add_f64 v[12:13], v[142:143], v[12:13]
	v_accvgpr_read_b32 v18, a62
	v_add_f64 v[122:123], v[150:151], -v[122:123]
	v_add_f64 v[12:13], v[138:139], v[12:13]
	v_mul_f64 v[162:163], v[190:191], s[0:1]
	v_accvgpr_read_b32 v19, a63
	v_add_f64 v[12:13], v[122:123], v[12:13]
	v_add_f64 v[18:19], v[162:163], -v[18:19]
	v_add_f64 v[4:5], v[4:5], v[12:13]
	v_add_f64 v[4:5], v[18:19], v[4:5]
	v_accvgpr_read_b32 v18, a32
	v_mul_f64 v[20:21], v[178:179], s[22:23]
	v_accvgpr_read_b32 v19, a33
	v_add_f64 v[18:19], v[18:19], v[20:21]
	v_accvgpr_read_b32 v20, a28
	v_mul_f64 v[124:125], v[170:171], s[20:21]
	v_accvgpr_read_b32 v21, a29
	v_add_f64 v[20:21], v[20:21], v[124:125]
	v_accvgpr_read_b32 v124, a146
	v_accvgpr_read_b32 v125, a147
	;; [unrolled: 1-line block ×3, first 2 shown]
	v_add_f64 v[8:9], v[124:125], v[8:9]
	v_accvgpr_read_b32 v124, a142
	v_mul_f64 v[120:121], v[156:157], s[18:19]
	v_accvgpr_read_b32 v123, a145
	v_accvgpr_read_b32 v125, a143
	v_add_f64 v[120:121], v[122:123], v[120:121]
	v_accvgpr_read_b32 v122, a148
	v_add_f64 v[14:15], v[124:125], v[14:15]
	;; [unrolled: 2-line block ×3, first 2 shown]
	v_add_f64 v[122:123], v[122:123], v[134:135]
	v_add_f64 v[8:9], v[8:9], v[14:15]
	;; [unrolled: 1-line block ×4, first 2 shown]
	v_accvgpr_read_b32 v120, a136
	v_accvgpr_read_b32 v22, a152
	;; [unrolled: 1-line block ×4, first 2 shown]
	v_add_f64 v[10:11], v[10:11], -v[120:121]
	v_accvgpr_read_b32 v120, a134
	v_add_f64 v[22:23], v[22:23], v[128:129]
	v_accvgpr_read_b32 v121, a135
	v_add_f64 v[8:9], v[22:23], v[8:9]
	v_accvgpr_read_b32 v22, a138
	v_add_f64 v[16:17], v[16:17], -v[120:121]
	v_accvgpr_read_b32 v12, a36
	v_add_f64 v[8:9], v[20:21], v[8:9]
	v_accvgpr_read_b32 v20, a150
	v_accvgpr_read_b32 v23, a139
	v_add_f64 v[16:17], v[24:25], v[16:17]
	v_mul_f64 v[140:141], v[154:155], s[18:19]
	v_mul_f64 v[130:131], v[160:161], s[10:11]
	;; [unrolled: 1-line block ×3, first 2 shown]
	v_accvgpr_read_b32 v13, a37
	v_add_f64 v[8:9], v[18:19], v[8:9]
	v_accvgpr_read_b32 v18, a140
	v_accvgpr_read_b32 v21, a151
	v_add_f64 v[22:23], v[132:133], -v[22:23]
	v_add_f64 v[10:11], v[10:11], v[16:17]
	v_add_f64 v[12:13], v[12:13], v[160:161]
	v_accvgpr_read_b32 v14, a26
	v_accvgpr_read_b32 v19, a141
	v_add_f64 v[20:21], v[140:141], -v[20:21]
	v_add_f64 v[10:11], v[22:23], v[10:11]
	v_mul_f64 v[126:127], v[168:169], s[20:21]
	v_accvgpr_read_b32 v159, a69
	v_add_f64 v[122:123], v[12:13], v[8:9]
	v_accvgpr_read_b32 v12, a30
	v_accvgpr_read_b32 v15, a27
	v_add_f64 v[18:19], v[130:131], -v[18:19]
	v_add_f64 v[10:11], v[20:21], v[10:11]
	v_mul_f64 v[154:155], v[174:175], s[22:23]
	v_mul_f64 v[156:157], v[200:201], s[0:1]
	v_accvgpr_read_b32 v158, a68
	v_accvgpr_read_b32 v8, a34
	;; [unrolled: 1-line block ×3, first 2 shown]
	v_add_f64 v[14:15], v[126:127], -v[14:15]
	v_add_f64 v[10:11], v[18:19], v[10:11]
	v_add_f64 v[156:157], v[158:159], v[156:157]
	v_mul_f64 v[158:159], v[190:191], s[24:25]
	v_accvgpr_read_b32 v9, a35
	v_add_f64 v[12:13], v[154:155], -v[12:13]
	v_add_f64 v[10:11], v[14:15], v[10:11]
	v_add_f64 v[8:9], v[158:159], -v[8:9]
	v_add_f64 v[10:11], v[12:13], v[10:11]
	v_add_f64 v[120:121], v[8:9], v[10:11]
	;; [unrolled: 1-line block ×34, first 2 shown]
	v_accvgpr_read_b32 v8, a1
	v_lshlrev_b32_e32 v8, 4, v8
	v_add_f64 v[92:93], v[194:195], v[92:93]
	v_add_f64 v[6:7], v[156:157], v[6:7]
	ds_write_b128 v8, v[24:27]
	ds_write_b128 v8, v[120:123] offset:16
	ds_write_b128 v8, v[4:7] offset:32
	;; [unrolled: 1-line block ×16, first 2 shown]
.LBB0_7:
	s_or_b64 exec, exec, s[38:39]
	s_movk_i32 s0, 0xf1
	v_mul_lo_u16_sdwa v0, v197, s0 dst_sel:DWORD dst_unused:UNUSED_PAD src0_sel:BYTE_0 src1_sel:DWORD
	v_lshrrev_b16_e32 v144, 12, v0
	v_mul_lo_u16_e32 v0, 17, v144
	v_sub_u16_e32 v0, v197, v0
	v_and_b32_e32 v145, 0xff, v0
	s_movk_i32 s0, 0x90
	v_mov_b64_e32 v[0:1], s[6:7]
	v_mad_u64_u32 v[0:1], s[0:1], v145, s0, v[0:1]
	s_load_dwordx4 s[8:11], s[2:3], 0x0
	s_waitcnt lgkmcnt(0)
	s_barrier
	global_load_dwordx4 v[36:39], v[0:1], off
	global_load_dwordx4 v[32:35], v[0:1], off offset:16
	global_load_dwordx4 v[28:31], v[0:1], off offset:32
	;; [unrolled: 1-line block ×8, first 2 shown]
	ds_read_b128 v[56:59], v196
	ds_read_b128 v[0:3], v196 offset:2992
	ds_read_b128 v[4:7], v196 offset:5984
	;; [unrolled: 1-line block ×9, first 2 shown]
	s_mov_b32 s18, 0x134454ff
	s_mov_b32 s19, 0x3fee6f0e
	;; [unrolled: 1-line block ×12, first 2 shown]
	s_waitcnt lgkmcnt(0)
	s_barrier
	s_waitcnt vmcnt(8)
	v_mul_f64 v[10:11], v[0:1], v[38:39]
	s_waitcnt vmcnt(7)
	v_mul_f64 v[12:13], v[6:7], v[34:35]
	v_mul_f64 v[14:15], v[4:5], v[34:35]
	s_waitcnt vmcnt(5)
	v_mul_f64 v[20:21], v[70:71], v[26:27]
	;; [unrolled: 3-line block ×3, first 2 shown]
	v_fmac_f64_e32 v[10:11], v[2:3], v[36:37]
	s_waitcnt vmcnt(1)
	v_mul_f64 v[108:109], v[86:87], v[42:43]
	v_mul_f64 v[110:111], v[84:85], v[42:43]
	v_fma_f64 v[2:3], v[4:5], v[32:33], -v[12:13]
	v_fmac_f64_e32 v[14:15], v[6:7], v[32:33]
	v_fma_f64 v[6:7], v[68:69], v[24:25], -v[20:21]
	v_fma_f64 v[12:13], v[76:77], v[48:49], -v[96:97]
	v_mul_f64 v[22:23], v[68:69], v[26:27]
	v_mul_f64 v[94:95], v[72:73], v[54:55]
	;; [unrolled: 1-line block ×3, first 2 shown]
	v_fma_f64 v[20:21], v[84:85], v[40:41], -v[108:109]
	v_fmac_f64_e32 v[110:111], v[86:87], v[40:41]
	v_add_f64 v[68:69], v[6:7], v[12:13]
	v_mul_f64 v[92:93], v[74:75], v[54:55]
	v_fmac_f64_e32 v[22:23], v[70:71], v[24:25]
	v_fmac_f64_e32 v[94:95], v[74:75], v[52:53]
	;; [unrolled: 1-line block ×3, first 2 shown]
	v_add_f64 v[70:71], v[14:15], -v[110:111]
	v_add_f64 v[74:75], v[2:3], -v[6:7]
	;; [unrolled: 1-line block ×3, first 2 shown]
	v_fma_f64 v[68:69], -0.5, v[68:69], v[56:57]
	v_fma_f64 v[0:1], v[0:1], v[36:37], -v[8:9]
	v_fma_f64 v[8:9], v[72:73], v[52:53], -v[92:93]
	v_add_f64 v[72:73], v[22:23], -v[98:99]
	v_add_f64 v[74:75], v[74:75], v[76:77]
	v_fma_f64 v[76:77], s[18:19], v[70:71], v[68:69]
	v_fmac_f64_e32 v[68:69], s[2:3], v[70:71]
	v_fmac_f64_e32 v[76:77], s[20:21], v[72:73]
	;; [unrolled: 1-line block ×3, first 2 shown]
	v_mul_f64 v[18:19], v[64:65], v[30:31]
	v_fmac_f64_e32 v[76:77], s[0:1], v[74:75]
	v_fmac_f64_e32 v[68:69], s[0:1], v[74:75]
	v_add_f64 v[74:75], v[2:3], v[20:21]
	v_mul_f64 v[16:17], v[66:67], v[30:31]
	v_mul_f64 v[104:105], v[82:83], v[46:47]
	v_fmac_f64_e32 v[18:19], v[66:67], v[28:29]
	v_add_f64 v[66:67], v[56:57], v[2:3]
	v_fmac_f64_e32 v[56:57], -0.5, v[74:75]
	v_mul_f64 v[106:107], v[80:81], v[46:47]
	v_fma_f64 v[4:5], v[64:65], v[28:29], -v[16:17]
	v_fma_f64 v[16:17], v[80:81], v[44:45], -v[104:105]
	v_add_f64 v[66:67], v[66:67], v[6:7]
	v_fma_f64 v[74:75], s[2:3], v[72:73], v[56:57]
	v_add_f64 v[78:79], v[6:7], -v[2:3]
	v_add_f64 v[80:81], v[12:13], -v[20:21]
	v_fmac_f64_e32 v[56:57], s[18:19], v[72:73]
	v_add_f64 v[72:73], v[22:23], v[98:99]
	v_add_f64 v[66:67], v[66:67], v[12:13]
	v_fmac_f64_e32 v[74:75], s[20:21], v[70:71]
	v_add_f64 v[78:79], v[78:79], v[80:81]
	v_fmac_f64_e32 v[56:57], s[16:17], v[70:71]
	v_fma_f64 v[72:73], -0.5, v[72:73], v[58:59]
	v_add_f64 v[2:3], v[2:3], -v[20:21]
	v_add_f64 v[66:67], v[66:67], v[20:21]
	v_fmac_f64_e32 v[74:75], s[0:1], v[78:79]
	v_fmac_f64_e32 v[56:57], s[0:1], v[78:79]
	v_fma_f64 v[20:21], s[2:3], v[2:3], v[72:73]
	v_add_f64 v[6:7], v[6:7], -v[12:13]
	v_add_f64 v[12:13], v[14:15], -v[22:23]
	;; [unrolled: 1-line block ×3, first 2 shown]
	v_fmac_f64_e32 v[72:73], s[18:19], v[2:3]
	v_fmac_f64_e32 v[20:21], s[16:17], v[6:7]
	v_add_f64 v[12:13], v[12:13], v[78:79]
	v_fmac_f64_e32 v[72:73], s[20:21], v[6:7]
	v_fmac_f64_e32 v[20:21], s[0:1], v[12:13]
	;; [unrolled: 1-line block ×3, first 2 shown]
	v_add_f64 v[12:13], v[14:15], v[110:111]
	v_add_f64 v[70:71], v[58:59], v[14:15]
	v_fmac_f64_e32 v[58:59], -0.5, v[12:13]
	s_waitcnt vmcnt(0)
	v_mul_f64 v[114:115], v[88:89], v[62:63]
	v_add_f64 v[70:71], v[70:71], v[22:23]
	v_fma_f64 v[12:13], s[18:19], v[6:7], v[58:59]
	v_add_f64 v[14:15], v[22:23], -v[14:15]
	v_add_f64 v[22:23], v[98:99], -v[110:111]
	v_fmac_f64_e32 v[58:59], s[2:3], v[6:7]
	v_mul_f64 v[112:113], v[90:91], v[62:63]
	v_fmac_f64_e32 v[114:115], v[90:91], v[60:61]
	v_fmac_f64_e32 v[12:13], s[16:17], v[2:3]
	v_add_f64 v[14:15], v[14:15], v[22:23]
	v_fmac_f64_e32 v[58:59], s[20:21], v[2:3]
	v_add_f64 v[6:7], v[8:9], v[16:17]
	v_fmac_f64_e32 v[106:107], v[82:83], v[44:45]
	v_fma_f64 v[64:65], v[88:89], v[60:61], -v[112:113]
	v_fmac_f64_e32 v[12:13], s[0:1], v[14:15]
	v_fmac_f64_e32 v[58:59], s[0:1], v[14:15]
	v_fma_f64 v[6:7], -0.5, v[6:7], v[0:1]
	v_add_f64 v[14:15], v[18:19], -v[114:115]
	v_fma_f64 v[22:23], s[18:19], v[14:15], v[6:7]
	v_add_f64 v[78:79], v[94:95], -v[106:107]
	v_add_f64 v[80:81], v[4:5], -v[8:9]
	;; [unrolled: 1-line block ×3, first 2 shown]
	v_fmac_f64_e32 v[6:7], s[2:3], v[14:15]
	v_fmac_f64_e32 v[22:23], s[20:21], v[78:79]
	v_add_f64 v[80:81], v[80:81], v[82:83]
	v_fmac_f64_e32 v[6:7], s[16:17], v[78:79]
	v_fmac_f64_e32 v[22:23], s[0:1], v[80:81]
	;; [unrolled: 1-line block ×3, first 2 shown]
	v_add_f64 v[80:81], v[4:5], v[64:65]
	v_add_f64 v[2:3], v[0:1], v[4:5]
	v_fmac_f64_e32 v[0:1], -0.5, v[80:81]
	v_add_f64 v[2:3], v[2:3], v[8:9]
	v_fma_f64 v[80:81], s[2:3], v[78:79], v[0:1]
	v_add_f64 v[82:83], v[8:9], -v[4:5]
	v_add_f64 v[84:85], v[16:17], -v[64:65]
	v_fmac_f64_e32 v[0:1], s[18:19], v[78:79]
	v_add_f64 v[78:79], v[94:95], v[106:107]
	v_add_f64 v[2:3], v[2:3], v[16:17]
	v_fmac_f64_e32 v[80:81], s[20:21], v[14:15]
	v_add_f64 v[82:83], v[82:83], v[84:85]
	v_fmac_f64_e32 v[0:1], s[16:17], v[14:15]
	v_fma_f64 v[78:79], -0.5, v[78:79], v[10:11]
	v_add_f64 v[4:5], v[4:5], -v[64:65]
	v_add_f64 v[2:3], v[2:3], v[64:65]
	v_fmac_f64_e32 v[80:81], s[0:1], v[82:83]
	v_fmac_f64_e32 v[0:1], s[0:1], v[82:83]
	v_fma_f64 v[64:65], s[2:3], v[4:5], v[78:79]
	v_add_f64 v[8:9], v[8:9], -v[16:17]
	v_add_f64 v[16:17], v[18:19], -v[94:95]
	;; [unrolled: 1-line block ×3, first 2 shown]
	v_fmac_f64_e32 v[78:79], s[18:19], v[4:5]
	v_fmac_f64_e32 v[64:65], s[16:17], v[8:9]
	v_add_f64 v[16:17], v[16:17], v[82:83]
	v_fmac_f64_e32 v[78:79], s[20:21], v[8:9]
	v_fmac_f64_e32 v[64:65], s[0:1], v[16:17]
	v_fmac_f64_e32 v[78:79], s[0:1], v[16:17]
	v_add_f64 v[16:17], v[18:19], v[114:115]
	v_add_f64 v[14:15], v[10:11], v[18:19]
	v_fmac_f64_e32 v[10:11], -0.5, v[16:17]
	v_fma_f64 v[16:17], s[18:19], v[8:9], v[10:11]
	v_add_f64 v[18:19], v[94:95], -v[18:19]
	v_add_f64 v[82:83], v[106:107], -v[114:115]
	v_fmac_f64_e32 v[10:11], s[2:3], v[8:9]
	v_fmac_f64_e32 v[16:17], s[16:17], v[4:5]
	v_add_f64 v[18:19], v[18:19], v[82:83]
	v_fmac_f64_e32 v[10:11], s[20:21], v[4:5]
	v_fmac_f64_e32 v[16:17], s[0:1], v[18:19]
	;; [unrolled: 1-line block ×3, first 2 shown]
	v_mul_f64 v[4:5], v[64:65], s[20:21]
	v_mul_f64 v[18:19], v[0:1], s[0:1]
	v_add_f64 v[14:15], v[14:15], v[94:95]
	v_fmac_f64_e32 v[4:5], s[22:23], v[22:23]
	v_fma_f64 v[18:19], v[10:11], s[18:19], -v[18:19]
	v_mul_f64 v[22:23], v[22:23], s[16:17]
	v_mul_f64 v[10:11], v[10:11], s[0:1]
	v_add_f64 v[70:71], v[70:71], v[98:99]
	v_add_f64 v[14:15], v[14:15], v[106:107]
	v_mul_f64 v[8:9], v[16:17], s[18:19]
	v_mul_f64 v[82:83], v[6:7], s[22:23]
	v_fmac_f64_e32 v[22:23], s[22:23], v[64:65]
	v_mul_f64 v[64:65], v[80:81], s[2:3]
	v_fma_f64 v[0:1], v[0:1], s[2:3], -v[10:11]
	v_mul_f64 v[10:11], v[78:79], s[22:23]
	v_add_f64 v[70:71], v[70:71], v[110:111]
	v_add_f64 v[14:15], v[14:15], v[114:115]
	v_fmac_f64_e32 v[8:9], s[0:1], v[80:81]
	v_fma_f64 v[82:83], v[78:79], s[20:21], -v[82:83]
	v_fmac_f64_e32 v[64:65], s[0:1], v[16:17]
	v_add_f64 v[118:119], v[58:59], v[0:1]
	v_fma_f64 v[6:7], v[6:7], s[16:17], -v[10:11]
	v_add_f64 v[138:139], v[58:59], -v[0:1]
	s_movk_i32 s0, 0xaa
	v_mul_u32_u24_e32 v0, 0xaa, v144
	v_add_f64 v[104:105], v[66:67], v[2:3]
	v_add_f64 v[108:109], v[76:77], v[4:5]
	;; [unrolled: 1-line block ×9, first 2 shown]
	v_add_f64 v[124:125], v[66:67], -v[2:3]
	v_add_f64 v[128:129], v[76:77], -v[4:5]
	;; [unrolled: 1-line block ×9, first 2 shown]
	v_add_lshl_u32 v56, v0, v145, 4
	v_cmp_gt_u16_e64 s[2:3], s0, v197
	ds_write_b128 v56, v[104:107]
	ds_write_b128 v56, v[108:111] offset:272
	ds_write_b128 v56, v[112:115] offset:544
	;; [unrolled: 1-line block ×9, first 2 shown]
	s_waitcnt lgkmcnt(0)
	s_barrier
	s_and_saveexec_b64 s[0:1], s[2:3]
	s_cbranch_execz .LBB0_9
; %bb.8:
	ds_read_b128 v[104:107], v196
	ds_read_b128 v[108:111], v196 offset:2720
	ds_read_b128 v[112:115], v196 offset:5440
	;; [unrolled: 1-line block ×10, first 2 shown]
.LBB0_9:
	s_or_b64 exec, exec, s[0:1]
	v_add_u32_e32 v0, 0xffffff56, v197
	v_cndmask_b32_e64 v0, v0, v197, s[2:3]
	v_mul_hi_i32_i24_e32 v1, 0xa0, v0
	v_mul_i32_i24_e32 v0, 0xa0, v0
	v_lshl_add_u64 v[0:1], s[6:7], 0, v[0:1]
	global_load_dwordx4 v[80:83], v[0:1], off offset:2448
	global_load_dwordx4 v[84:87], v[0:1], off offset:2464
	;; [unrolled: 1-line block ×10, first 2 shown]
	s_mov_b32 s16, 0xf8bb580b
	s_mov_b32 s17, 0xbfe14ced
	;; [unrolled: 1-line block ×26, first 2 shown]
	s_waitcnt vmcnt(9) lgkmcnt(9)
	v_mul_f64 v[4:5], v[110:111], v[82:83]
	v_mul_f64 v[6:7], v[108:109], v[82:83]
	s_waitcnt vmcnt(8) lgkmcnt(8)
	v_mul_f64 v[8:9], v[114:115], v[86:87]
	v_fma_f64 v[158:159], v[108:109], v[80:81], -v[4:5]
	s_waitcnt vmcnt(5) lgkmcnt(5)
	v_mul_f64 v[18:19], v[126:127], v[166:167]
	v_mul_f64 v[10:11], v[112:113], v[86:87]
	;; [unrolled: 1-line block ×3, first 2 shown]
	s_waitcnt vmcnt(2) lgkmcnt(2)
	v_mul_f64 v[58:59], v[138:139], v[70:71]
	v_mul_f64 v[16:17], v[122:123], v[96:97]
	;; [unrolled: 1-line block ×3, first 2 shown]
	s_waitcnt vmcnt(0) lgkmcnt(0)
	v_mul_f64 v[154:155], v[102:103], v[66:67]
	v_fmac_f64_e32 v[6:7], v[110:111], v[80:81]
	v_fma_f64 v[8:9], v[112:113], v[84:85], -v[8:9]
	v_fma_f64 v[108:109], v[124:125], v[164:165], -v[18:19]
	v_fma_f64 v[18:19], v[136:137], v[68:69], -v[58:59]
	v_add_f64 v[58:59], v[104:105], v[158:159]
	v_mul_f64 v[14:15], v[116:117], v[90:91]
	v_mul_f64 v[156:157], v[100:101], v[66:67]
	v_fmac_f64_e32 v[10:11], v[114:115], v[84:85]
	v_fma_f64 v[12:13], v[116:117], v[88:89], -v[12:13]
	v_fma_f64 v[4:5], v[120:121], v[94:95], -v[16:17]
	;; [unrolled: 1-line block ×4, first 2 shown]
	v_add_f64 v[100:101], v[106:107], v[6:7]
	v_add_f64 v[58:59], v[58:59], v[8:9]
	v_mul_f64 v[0:1], v[120:121], v[96:97]
	v_fmac_f64_e32 v[14:15], v[118:119], v[88:89]
	v_add_f64 v[100:101], v[100:101], v[10:11]
	v_add_f64 v[58:59], v[58:59], v[12:13]
	v_mul_f64 v[144:145], v[124:125], v[166:167]
	v_mul_f64 v[20:21], v[130:131], v[162:163]
	v_fmac_f64_e32 v[0:1], v[122:123], v[94:95]
	v_add_f64 v[100:101], v[100:101], v[14:15]
	v_add_f64 v[58:59], v[58:59], v[4:5]
	v_mul_f64 v[146:147], v[128:129], v[162:163]
	v_fmac_f64_e32 v[144:145], v[126:127], v[164:165]
	v_fma_f64 v[110:111], v[128:129], v[160:161], -v[20:21]
	v_add_f64 v[100:101], v[100:101], v[0:1]
	v_add_f64 v[58:59], v[58:59], v[108:109]
	v_mul_f64 v[2:3], v[132:133], v[78:79]
	v_fmac_f64_e32 v[146:147], v[130:131], v[160:161]
	v_fmac_f64_e32 v[156:157], v[102:103], v[64:65]
	v_add_f64 v[100:101], v[100:101], v[144:145]
	v_add_f64 v[58:59], v[58:59], v[110:111]
	v_mul_f64 v[148:149], v[136:137], v[70:71]
	v_mul_f64 v[150:151], v[142:143], v[74:75]
	v_fmac_f64_e32 v[2:3], v[134:135], v[76:77]
	v_add_f64 v[114:115], v[6:7], v[156:157]
	v_add_f64 v[6:7], v[6:7], -v[156:157]
	v_add_f64 v[100:101], v[100:101], v[146:147]
	v_add_f64 v[58:59], v[58:59], v[16:17]
	v_mul_f64 v[152:153], v[140:141], v[74:75]
	v_fmac_f64_e32 v[148:149], v[138:139], v[68:69]
	v_fma_f64 v[20:21], v[140:141], v[72:73], -v[150:151]
	v_add_f64 v[112:113], v[158:159], v[22:23]
	v_mul_f64 v[102:103], v[6:7], s[16:17]
	v_add_f64 v[100:101], v[100:101], v[2:3]
	v_add_f64 v[58:59], v[58:59], v[18:19]
	v_fmac_f64_e32 v[152:153], v[142:143], v[72:73]
	v_add_f64 v[116:117], v[158:159], -v[22:23]
	v_mul_f64 v[120:121], v[6:7], s[0:1]
	v_fma_f64 v[122:123], v[112:113], s[6:7], -v[102:103]
	v_fmac_f64_e32 v[102:103], s[6:7], v[112:113]
	v_add_f64 v[100:101], v[100:101], v[148:149]
	v_add_f64 v[58:59], v[58:59], v[20:21]
	v_mul_f64 v[130:131], v[6:7], s[20:21]
	v_mul_f64 v[138:139], v[6:7], s[24:25]
	;; [unrolled: 1-line block ×4, first 2 shown]
	v_add_f64 v[126:127], v[104:105], v[102:103]
	v_add_f64 v[102:103], v[100:101], v[152:153]
	;; [unrolled: 1-line block ×3, first 2 shown]
	v_fma_f64 v[22:23], v[112:113], s[18:19], -v[120:121]
	v_mul_f64 v[58:59], v[116:117], s[0:1]
	v_fmac_f64_e32 v[120:121], s[18:19], v[112:113]
	v_fma_f64 v[132:133], v[112:113], s[22:23], -v[130:131]
	v_mul_f64 v[134:135], v[116:117], s[20:21]
	v_fmac_f64_e32 v[130:131], s[22:23], v[112:113]
	;; [unrolled: 3-line block ×4, first 2 shown]
	v_fma_f64 v[124:125], s[6:7], v[114:115], v[118:119]
	v_fma_f64 v[118:119], v[114:115], s[6:7], -v[118:119]
	v_add_f64 v[122:123], v[104:105], v[122:123]
	v_add_f64 v[102:103], v[102:103], v[156:157]
	;; [unrolled: 1-line block ×3, first 2 shown]
	v_fma_f64 v[128:129], s[18:19], v[114:115], v[58:59]
	v_add_f64 v[120:121], v[104:105], v[120:121]
	v_fma_f64 v[58:59], v[114:115], s[18:19], -v[58:59]
	v_add_f64 v[132:133], v[104:105], v[132:133]
	v_fma_f64 v[136:137], s[22:23], v[114:115], v[134:135]
	v_add_f64 v[130:131], v[104:105], v[130:131]
	v_fma_f64 v[134:135], v[114:115], s[22:23], -v[134:135]
	v_add_f64 v[140:141], v[104:105], v[140:141]
	v_fma_f64 v[150:151], s[26:27], v[114:115], v[142:143]
	v_add_f64 v[138:139], v[104:105], v[138:139]
	v_fma_f64 v[142:143], v[114:115], s[26:27], -v[142:143]
	v_add_f64 v[154:155], v[104:105], v[154:155]
	v_fma_f64 v[156:157], s[30:31], v[114:115], v[116:117]
	v_add_f64 v[6:7], v[104:105], v[6:7]
	v_fma_f64 v[104:105], v[114:115], s[30:31], -v[116:117]
	v_add_f64 v[112:113], v[10:11], v[152:153]
	v_add_f64 v[10:11], v[10:11], -v[152:153]
	v_add_f64 v[124:125], v[106:107], v[124:125]
	v_add_f64 v[118:119], v[106:107], v[118:119]
	;; [unrolled: 1-line block ×11, first 2 shown]
	v_add_f64 v[8:9], v[8:9], -v[20:21]
	v_mul_f64 v[20:21], v[10:11], s[0:1]
	v_fma_f64 v[114:115], v[106:107], s[18:19], -v[20:21]
	v_mul_f64 v[116:117], v[8:9], s[0:1]
	v_add_f64 v[114:115], v[114:115], v[122:123]
	v_fma_f64 v[122:123], s[18:19], v[112:113], v[116:117]
	v_fma_f64 v[116:117], v[112:113], s[18:19], -v[116:117]
	v_add_f64 v[116:117], v[116:117], v[118:119]
	v_mul_f64 v[118:119], v[10:11], s[24:25]
	v_add_f64 v[122:123], v[122:123], v[124:125]
	v_fma_f64 v[124:125], v[106:107], s[26:27], -v[118:119]
	v_add_f64 v[22:23], v[124:125], v[22:23]
	v_mul_f64 v[124:125], v[8:9], s[24:25]
	v_fmac_f64_e32 v[118:119], s[26:27], v[106:107]
	v_fmac_f64_e32 v[20:21], s[18:19], v[106:107]
	v_add_f64 v[118:119], v[118:119], v[120:121]
	v_fma_f64 v[120:121], v[112:113], s[26:27], -v[124:125]
	v_add_f64 v[20:21], v[20:21], v[126:127]
	v_fma_f64 v[126:127], s[26:27], v[112:113], v[124:125]
	v_add_f64 v[58:59], v[120:121], v[58:59]
	v_mul_f64 v[120:121], v[10:11], s[38:39]
	v_add_f64 v[126:127], v[126:127], v[128:129]
	v_fma_f64 v[124:125], v[106:107], s[30:31], -v[120:121]
	v_mul_f64 v[128:129], v[8:9], s[38:39]
	v_fmac_f64_e32 v[120:121], s[30:31], v[106:107]
	v_add_f64 v[124:125], v[124:125], v[132:133]
	v_fma_f64 v[132:133], s[30:31], v[112:113], v[128:129]
	v_add_f64 v[120:121], v[120:121], v[130:131]
	v_fma_f64 v[128:129], v[112:113], s[30:31], -v[128:129]
	v_mul_f64 v[130:131], v[10:11], s[36:37]
	v_add_f64 v[132:133], v[132:133], v[136:137]
	v_add_f64 v[128:129], v[128:129], v[134:135]
	v_fma_f64 v[134:135], v[106:107], s[22:23], -v[130:131]
	v_mul_f64 v[136:137], v[8:9], s[36:37]
	v_add_f64 v[134:135], v[134:135], v[140:141]
	v_fma_f64 v[140:141], s[22:23], v[112:113], v[136:137]
	v_fma_f64 v[136:137], v[112:113], s[22:23], -v[136:137]
	v_mul_f64 v[8:9], v[8:9], s[34:35]
	v_fmac_f64_e32 v[130:131], s[22:23], v[106:107]
	v_add_f64 v[136:137], v[136:137], v[142:143]
	v_mul_f64 v[10:11], v[10:11], s[34:35]
	v_fma_f64 v[142:143], s[6:7], v[112:113], v[8:9]
	v_fma_f64 v[8:9], v[112:113], s[6:7], -v[8:9]
	v_add_f64 v[130:131], v[130:131], v[138:139]
	v_fma_f64 v[138:139], v[106:107], s[6:7], -v[10:11]
	v_fmac_f64_e32 v[10:11], s[6:7], v[106:107]
	v_add_f64 v[8:9], v[8:9], v[104:105]
	v_add_f64 v[104:105], v[14:15], v[148:149]
	v_add_f64 v[14:15], v[14:15], -v[148:149]
	v_add_f64 v[6:7], v[10:11], v[6:7]
	v_add_f64 v[10:11], v[12:13], v[18:19]
	v_add_f64 v[12:13], v[12:13], -v[18:19]
	v_mul_f64 v[18:19], v[14:15], s[20:21]
	v_fma_f64 v[106:107], v[10:11], s[22:23], -v[18:19]
	v_mul_f64 v[112:113], v[12:13], s[20:21]
	v_fmac_f64_e32 v[18:19], s[22:23], v[10:11]
	v_add_f64 v[106:107], v[106:107], v[114:115]
	v_fma_f64 v[114:115], s[22:23], v[104:105], v[112:113]
	v_add_f64 v[18:19], v[18:19], v[20:21]
	v_fma_f64 v[20:21], v[104:105], s[22:23], -v[112:113]
	v_mul_f64 v[112:113], v[14:15], s[38:39]
	v_add_f64 v[20:21], v[20:21], v[116:117]
	v_fma_f64 v[116:117], v[10:11], s[30:31], -v[112:113]
	v_add_f64 v[22:23], v[116:117], v[22:23]
	v_mul_f64 v[116:117], v[12:13], s[38:39]
	v_add_f64 v[114:115], v[114:115], v[122:123]
	v_fma_f64 v[122:123], s[30:31], v[104:105], v[116:117]
	v_fma_f64 v[116:117], v[104:105], s[30:31], -v[116:117]
	s_mov_b32 s1, 0x3fed1bb4
	v_fmac_f64_e32 v[112:113], s[30:31], v[10:11]
	v_add_f64 v[58:59], v[116:117], v[58:59]
	v_mul_f64 v[116:117], v[14:15], s[0:1]
	v_add_f64 v[112:113], v[112:113], v[118:119]
	v_fma_f64 v[118:119], v[10:11], s[18:19], -v[116:117]
	v_add_f64 v[118:119], v[118:119], v[124:125]
	v_mul_f64 v[124:125], v[12:13], s[0:1]
	v_fmac_f64_e32 v[116:117], s[18:19], v[10:11]
	v_add_f64 v[122:123], v[122:123], v[126:127]
	v_fma_f64 v[126:127], s[18:19], v[104:105], v[124:125]
	v_add_f64 v[116:117], v[116:117], v[120:121]
	v_fma_f64 v[120:121], v[104:105], s[18:19], -v[124:125]
	v_mul_f64 v[124:125], v[14:15], s[16:17]
	v_add_f64 v[126:127], v[126:127], v[132:133]
	v_add_f64 v[120:121], v[120:121], v[128:129]
	v_fma_f64 v[128:129], v[10:11], s[6:7], -v[124:125]
	v_mul_f64 v[132:133], v[12:13], s[16:17]
	v_fmac_f64_e32 v[124:125], s[6:7], v[10:11]
	v_add_f64 v[124:125], v[124:125], v[130:131]
	v_fma_f64 v[130:131], v[104:105], s[6:7], -v[132:133]
	v_mul_f64 v[14:15], v[14:15], s[24:25]
	v_mul_f64 v[12:13], v[12:13], s[24:25]
	v_add_f64 v[128:129], v[128:129], v[134:135]
	v_fma_f64 v[134:135], s[6:7], v[104:105], v[132:133]
	v_add_f64 v[130:131], v[130:131], v[136:137]
	v_fma_f64 v[132:133], v[10:11], s[26:27], -v[14:15]
	v_fma_f64 v[136:137], s[26:27], v[104:105], v[12:13]
	v_fmac_f64_e32 v[14:15], s[26:27], v[10:11]
	v_fma_f64 v[10:11], v[104:105], s[26:27], -v[12:13]
	v_add_f64 v[12:13], v[0:1], v[2:3]
	v_add_f64 v[0:1], v[0:1], -v[2:3]
	v_add_f64 v[8:9], v[10:11], v[8:9]
	v_add_f64 v[10:11], v[4:5], v[16:17]
	v_add_f64 v[4:5], v[4:5], -v[16:17]
	v_mul_f64 v[2:3], v[0:1], s[24:25]
	v_add_f64 v[6:7], v[14:15], v[6:7]
	v_fma_f64 v[14:15], v[10:11], s[26:27], -v[2:3]
	v_mul_f64 v[16:17], v[4:5], s[24:25]
	v_fmac_f64_e32 v[2:3], s[26:27], v[10:11]
	v_fma_f64 v[104:105], s[26:27], v[12:13], v[16:17]
	v_add_f64 v[2:3], v[2:3], v[18:19]
	v_fma_f64 v[16:17], v[12:13], s[26:27], -v[16:17]
	v_mul_f64 v[18:19], v[0:1], s[36:37]
	v_add_f64 v[16:17], v[16:17], v[20:21]
	v_fma_f64 v[20:21], v[10:11], s[22:23], -v[18:19]
	v_add_f64 v[20:21], v[20:21], v[22:23]
	v_mul_f64 v[22:23], v[4:5], s[36:37]
	v_add_f64 v[14:15], v[14:15], v[106:107]
	v_add_f64 v[106:107], v[104:105], v[114:115]
	v_fma_f64 v[104:105], s[22:23], v[12:13], v[22:23]
	v_fma_f64 v[22:23], v[12:13], s[22:23], -v[22:23]
	v_add_f64 v[22:23], v[22:23], v[58:59]
	v_mul_f64 v[58:59], v[0:1], s[16:17]
	v_add_f64 v[114:115], v[104:105], v[122:123]
	v_fmac_f64_e32 v[18:19], s[22:23], v[10:11]
	v_fma_f64 v[104:105], v[10:11], s[6:7], -v[58:59]
	v_add_f64 v[18:19], v[18:19], v[112:113]
	v_add_f64 v[112:113], v[104:105], v[118:119]
	v_mul_f64 v[104:105], v[4:5], s[16:17]
	v_fma_f64 v[118:119], s[6:7], v[12:13], v[104:105]
	v_fmac_f64_e32 v[58:59], s[6:7], v[10:11]
	v_fma_f64 v[104:105], v[12:13], s[6:7], -v[104:105]
	v_add_f64 v[58:59], v[58:59], v[116:117]
	v_add_f64 v[116:117], v[104:105], v[120:121]
	v_mul_f64 v[104:105], v[0:1], s[28:29]
	v_add_f64 v[140:141], v[140:141], v[150:151]
	v_fma_f64 v[120:121], v[10:11], s[30:31], -v[104:105]
	v_mul_f64 v[122:123], v[4:5], s[28:29]
	v_fmac_f64_e32 v[104:105], s[30:31], v[10:11]
	v_add_f64 v[138:139], v[138:139], v[154:155]
	v_add_f64 v[134:135], v[134:135], v[140:141]
	;; [unrolled: 1-line block ×3, first 2 shown]
	v_fma_f64 v[104:105], v[12:13], s[30:31], -v[122:123]
	v_mul_f64 v[0:1], v[0:1], s[0:1]
	v_add_f64 v[142:143], v[142:143], v[156:157]
	v_add_f64 v[132:133], v[132:133], v[138:139]
	;; [unrolled: 1-line block ×3, first 2 shown]
	v_fma_f64 v[126:127], s[30:31], v[12:13], v[122:123]
	v_add_f64 v[122:123], v[104:105], v[130:131]
	v_fma_f64 v[104:105], v[10:11], s[18:19], -v[0:1]
	v_mul_f64 v[4:5], v[4:5], s[0:1]
	v_add_f64 v[136:137], v[136:137], v[142:143]
	v_add_f64 v[142:143], v[104:105], v[132:133]
	v_fma_f64 v[104:105], s[18:19], v[12:13], v[4:5]
	v_fmac_f64_e32 v[0:1], s[18:19], v[10:11]
	v_fma_f64 v[4:5], v[12:13], s[18:19], -v[4:5]
	v_add_f64 v[12:13], v[144:145], -v[146:147]
	v_add_f64 v[0:1], v[0:1], v[6:7]
	v_add_f64 v[6:7], v[108:109], v[110:111]
	v_add_f64 v[10:11], v[108:109], -v[110:111]
	v_mul_f64 v[108:109], v[12:13], s[28:29]
	v_add_f64 v[148:149], v[104:105], v[136:137]
	v_fma_f64 v[104:105], v[6:7], s[30:31], -v[108:109]
	v_add_f64 v[4:5], v[4:5], v[8:9]
	v_add_f64 v[8:9], v[144:145], v[146:147]
	;; [unrolled: 1-line block ×3, first 2 shown]
	v_mul_f64 v[14:15], v[10:11], s[28:29]
	v_fmac_f64_e32 v[108:109], s[30:31], v[6:7]
	v_add_f64 v[124:125], v[108:109], v[2:3]
	v_fma_f64 v[2:3], v[8:9], s[30:31], -v[14:15]
	v_add_f64 v[138:139], v[126:127], v[134:135]
	v_add_f64 v[126:127], v[2:3], v[16:17]
	v_mul_f64 v[2:3], v[12:13], s[34:35]
	v_fma_f64 v[110:111], s[30:31], v[8:9], v[14:15]
	v_fma_f64 v[14:15], v[6:7], s[6:7], -v[2:3]
	v_add_f64 v[108:109], v[14:15], v[20:21]
	v_mul_f64 v[14:15], v[10:11], s[34:35]
	v_fmac_f64_e32 v[2:3], s[6:7], v[6:7]
	v_add_f64 v[120:121], v[120:121], v[128:129]
	v_add_f64 v[128:129], v[2:3], v[18:19]
	v_fma_f64 v[2:3], v[8:9], s[6:7], -v[14:15]
	v_add_f64 v[130:131], v[2:3], v[22:23]
	v_mul_f64 v[2:3], v[12:13], s[24:25]
	v_fma_f64 v[16:17], s[6:7], v[8:9], v[14:15]
	v_fma_f64 v[14:15], v[6:7], s[26:27], -v[2:3]
	v_add_f64 v[112:113], v[14:15], v[112:113]
	v_mul_f64 v[14:15], v[10:11], s[24:25]
	v_fmac_f64_e32 v[2:3], s[26:27], v[6:7]
	v_add_f64 v[132:133], v[2:3], v[58:59]
	v_fma_f64 v[2:3], v[8:9], s[26:27], -v[14:15]
	v_add_f64 v[134:135], v[2:3], v[116:117]
	v_mul_f64 v[2:3], v[12:13], s[0:1]
	v_add_f64 v[106:107], v[110:111], v[106:107]
	v_add_f64 v[110:111], v[16:17], v[114:115]
	v_fma_f64 v[16:17], s[26:27], v[8:9], v[14:15]
	v_fma_f64 v[14:15], v[6:7], s[18:19], -v[2:3]
	v_add_f64 v[116:117], v[14:15], v[120:121]
	v_mul_f64 v[14:15], v[10:11], s[0:1]
	v_fmac_f64_e32 v[2:3], s[18:19], v[6:7]
	v_add_f64 v[114:115], v[16:17], v[118:119]
	v_fma_f64 v[16:17], s[18:19], v[8:9], v[14:15]
	v_add_f64 v[136:137], v[2:3], v[140:141]
	v_fma_f64 v[2:3], v[8:9], s[18:19], -v[14:15]
	v_add_f64 v[118:119], v[16:17], v[138:139]
	v_add_f64 v[138:139], v[2:3], v[122:123]
	v_mul_f64 v[2:3], v[12:13], s[20:21]
	v_fma_f64 v[12:13], v[6:7], s[22:23], -v[2:3]
	v_mul_f64 v[10:11], v[10:11], s[20:21]
	v_fmac_f64_e32 v[2:3], s[22:23], v[6:7]
	v_accvgpr_write_b32 a46, v164
	v_accvgpr_write_b32 a42, v160
	;; [unrolled: 1-line block ×6, first 2 shown]
	v_add_f64 v[120:121], v[12:13], v[142:143]
	v_fma_f64 v[12:13], s[22:23], v[8:9], v[10:11]
	v_add_f64 v[140:141], v[2:3], v[0:1]
	v_fma_f64 v[0:1], v[8:9], s[22:23], -v[10:11]
	v_accvgpr_write_b32 a47, v165
	v_accvgpr_write_b32 a48, v166
	;; [unrolled: 1-line block ×18, first 2 shown]
	v_add_f64 v[122:123], v[12:13], v[148:149]
	v_add_f64 v[142:143], v[0:1], v[4:5]
	s_mov_b64 s[0:1], exec
	v_accvgpr_read_b32 v17, a5
	v_accvgpr_read_b32 v21, a9
	;; [unrolled: 1-line block ×5, first 2 shown]
	s_and_b64 s[6:7], s[0:1], s[2:3]
	v_accvgpr_read_b32 v16, a4
	v_accvgpr_read_b32 v15, a3
	;; [unrolled: 1-line block ×15, first 2 shown]
	s_mov_b64 exec, s[6:7]
	s_cbranch_execz .LBB0_11
; %bb.10:
	ds_write_b128 v196, v[100:103]
	ds_write_b128 v196, v[104:107] offset:2720
	ds_write_b128 v196, v[108:111] offset:5440
	;; [unrolled: 1-line block ×10, first 2 shown]
.LBB0_11:
	s_or_b64 exec, exec, s[0:1]
	s_waitcnt lgkmcnt(0)
	s_barrier
	s_and_saveexec_b64 s[0:1], s[4:5]
	s_cbranch_execz .LBB0_13
; %bb.12:
	v_mov_b32_e32 v0, v197
	v_mov_b32_e32 v197, 0
	v_lshl_add_u64 v[192:193], s[12:13], 0, v[196:197]
	s_mov_b64 s[6:7], 0x74e0
	v_add_co_u32_e32 v2, vcc, 0x7000, v192
	v_mov_b32_e32 v197, v0
	v_lshl_add_u64 v[0:1], v[192:193], 0, s[6:7]
	v_addc_co_u32_e32 v3, vcc, 0, v193, vcc
	s_mov_b32 s6, 0x8000
	global_load_dwordx4 v[144:147], v[0:1], off offset:1760
	global_load_dwordx4 v[152:155], v[0:1], off offset:3520
	v_add_co_u32_e32 v0, vcc, s6, v192
	global_load_dwordx4 v[148:151], v[2:3], off offset:1248
	s_nop 0
	v_addc_co_u32_e32 v1, vcc, 0, v193, vcc
	global_load_dwordx4 v[156:159], v[0:1], off offset:2432
	s_mov_b32 s6, 0x9000
	v_add_co_u32_e32 v0, vcc, s6, v192
	s_mov_b32 s6, 0xa000
	s_nop 0
	v_addc_co_u32_e32 v1, vcc, 0, v193, vcc
	global_load_dwordx4 v[160:163], v[0:1], off offset:96
	global_load_dwordx4 v[164:167], v[0:1], off offset:1856
	;; [unrolled: 1-line block ×3, first 2 shown]
	v_add_co_u32_e32 v0, vcc, s6, v192
	s_mov_b32 s6, 0xb000
	s_nop 0
	v_addc_co_u32_e32 v1, vcc, 0, v193, vcc
	global_load_dwordx4 v[168:171], v[0:1], off offset:1280
	global_load_dwordx4 v[180:183], v[0:1], off offset:3040
	v_add_co_u32_e32 v0, vcc, s6, v192
	s_mov_b32 s6, 0xc000
	s_nop 0
	v_addc_co_u32_e32 v1, vcc, 0, v193, vcc
	global_load_dwordx4 v[176:179], v[0:1], off offset:704
	ds_read_b128 v[184:187], v196
	ds_read_b128 v[188:191], v196 offset:1760
	global_load_dwordx4 v[0:3], v[0:1], off offset:2464
	v_add_co_u32_e32 v8, vcc, s6, v192
	s_mov_b32 s6, 0xd000
	s_nop 0
	v_addc_co_u32_e32 v9, vcc, 0, v193, vcc
	global_load_dwordx4 v[4:7], v[8:9], off offset:128
	ds_read_b128 v[198:201], v196 offset:3520
	ds_read_b128 v[202:205], v196 offset:5280
	global_load_dwordx4 v[206:209], v[8:9], off offset:1888
	global_load_dwordx4 v[210:213], v[8:9], off offset:3648
	v_add_co_u32_e32 v10, vcc, s6, v192
	s_mov_b32 s7, 0xe000
	s_nop 0
	v_addc_co_u32_e32 v11, vcc, 0, v193, vcc
	v_add_co_u32_e32 v8, vcc, s7, v192
	s_waitcnt vmcnt(13) lgkmcnt(2)
	v_mul_f64 v[224:225], v[188:189], v[146:147]
	v_addc_co_u32_e32 v9, vcc, 0, v193, vcc
	global_load_dwordx4 v[192:195], v[10:11], off offset:1312
	global_load_dwordx4 v[214:217], v[10:11], off offset:3072
	;; [unrolled: 1-line block ×3, first 2 shown]
	v_mul_f64 v[8:9], v[190:191], v[146:147]
	s_waitcnt vmcnt(15) lgkmcnt(1)
	v_mul_f64 v[10:11], v[200:201], v[154:155]
	v_mul_f64 v[146:147], v[198:199], v[154:155]
	v_fma_f64 v[222:223], v[188:189], v[144:145], -v[8:9]
	v_fmac_f64_e32 v[224:225], v[190:191], v[144:145]
	s_waitcnt vmcnt(14)
	v_mul_f64 v[12:13], v[186:187], v[150:151]
	v_mul_f64 v[154:155], v[184:185], v[150:151]
	v_fma_f64 v[144:145], v[198:199], v[152:153], -v[10:11]
	v_fmac_f64_e32 v[146:147], v[200:201], v[152:153]
	ds_write_b128 v196, v[222:225] offset:1760
	ds_write_b128 v196, v[144:147] offset:3520
	s_waitcnt vmcnt(13) lgkmcnt(2)
	v_mul_f64 v[8:9], v[204:205], v[158:159]
	v_mul_f64 v[150:151], v[202:203], v[158:159]
	v_fma_f64 v[152:153], v[184:185], v[148:149], -v[12:13]
	v_fmac_f64_e32 v[154:155], v[186:187], v[148:149]
	ds_read_b128 v[144:147], v196 offset:7040
	v_fma_f64 v[148:149], v[202:203], v[156:157], -v[8:9]
	v_fmac_f64_e32 v[150:151], v[204:205], v[156:157]
	ds_write_b128 v196, v[152:155]
	ds_write_b128 v196, v[148:151] offset:5280
	ds_read_b128 v[148:151], v196 offset:8800
	s_waitcnt vmcnt(12) lgkmcnt(3)
	v_mul_f64 v[8:9], v[146:147], v[162:163]
	v_mul_f64 v[154:155], v[144:145], v[162:163]
	v_fma_f64 v[152:153], v[144:145], v[160:161], -v[8:9]
	v_fmac_f64_e32 v[154:155], v[146:147], v[160:161]
	ds_write_b128 v196, v[152:155] offset:7040
	ds_read_b128 v[152:155], v196 offset:10560
	s_waitcnt vmcnt(11) lgkmcnt(2)
	v_mul_f64 v[8:9], v[150:151], v[166:167]
	v_mul_f64 v[146:147], v[148:149], v[166:167]
	v_fma_f64 v[144:145], v[148:149], v[164:165], -v[8:9]
	v_fmac_f64_e32 v[146:147], v[150:151], v[164:165]
	;; [unrolled: 7-line block ×3, first 2 shown]
	ds_read_b128 v[152:155], v196 offset:14080
	ds_write_b128 v196, v[148:151] offset:10560
	s_waitcnt vmcnt(9) lgkmcnt(2)
	v_mul_f64 v[8:9], v[146:147], v[170:171]
	v_mul_f64 v[150:151], v[144:145], v[170:171]
	v_fma_f64 v[148:149], v[144:145], v[168:169], -v[8:9]
	v_fmac_f64_e32 v[150:151], v[146:147], v[168:169]
	ds_read_b128 v[144:147], v196 offset:15840
	ds_write_b128 v196, v[148:151] offset:12320
	s_waitcnt vmcnt(8) lgkmcnt(3)
	v_mul_f64 v[8:9], v[154:155], v[182:183]
	v_mul_f64 v[150:151], v[152:153], v[182:183]
	v_fma_f64 v[148:149], v[152:153], v[180:181], -v[8:9]
	v_fmac_f64_e32 v[150:151], v[154:155], v[180:181]
	;; [unrolled: 7-line block ×4, first 2 shown]
	ds_write_b128 v196, v[148:151] offset:17600
	ds_read_b128 v[148:151], v196 offset:21120
	s_waitcnt vmcnt(5) lgkmcnt(3)
	v_mul_f64 v[0:1], v[146:147], v[6:7]
	v_mul_f64 v[2:3], v[144:145], v[6:7]
	v_fma_f64 v[0:1], v[144:145], v[4:5], -v[0:1]
	v_fmac_f64_e32 v[2:3], v[146:147], v[4:5]
	ds_write_b128 v196, v[0:3] offset:19360
	ds_read_b128 v[0:3], v196 offset:22880
	ds_read_b128 v[144:147], v196 offset:24640
	s_waitcnt vmcnt(4) lgkmcnt(3)
	v_mul_f64 v[4:5], v[150:151], v[208:209]
	v_mul_f64 v[6:7], v[148:149], v[208:209]
	v_fma_f64 v[4:5], v[148:149], v[206:207], -v[4:5]
	v_fmac_f64_e32 v[6:7], v[150:151], v[206:207]
	ds_write_b128 v196, v[4:7] offset:21120
	s_waitcnt vmcnt(3) lgkmcnt(2)
	v_mul_f64 v[4:5], v[2:3], v[212:213]
	v_mul_f64 v[6:7], v[0:1], v[212:213]
	v_fma_f64 v[4:5], v[0:1], v[210:211], -v[4:5]
	v_fmac_f64_e32 v[6:7], v[2:3], v[210:211]
	ds_write_b128 v196, v[4:7] offset:22880
	s_waitcnt vmcnt(2) lgkmcnt(2)
	v_mul_f64 v[4:5], v[146:147], v[194:195]
	v_mul_f64 v[6:7], v[144:145], v[194:195]
	ds_read_b128 v[0:3], v196 offset:26400
	v_fma_f64 v[4:5], v[144:145], v[192:193], -v[4:5]
	v_fmac_f64_e32 v[6:7], v[146:147], v[192:193]
	ds_write_b128 v196, v[4:7] offset:24640
	ds_read_b128 v[4:7], v196 offset:28160
	s_waitcnt vmcnt(1) lgkmcnt(2)
	v_mul_f64 v[8:9], v[2:3], v[216:217]
	v_mul_f64 v[146:147], v[0:1], v[216:217]
	v_fma_f64 v[144:145], v[0:1], v[214:215], -v[8:9]
	v_fmac_f64_e32 v[146:147], v[2:3], v[214:215]
	s_waitcnt vmcnt(0) lgkmcnt(0)
	v_mul_f64 v[0:1], v[6:7], v[220:221]
	v_mul_f64 v[2:3], v[4:5], v[220:221]
	v_fma_f64 v[0:1], v[4:5], v[218:219], -v[0:1]
	v_fmac_f64_e32 v[2:3], v[6:7], v[218:219]
	ds_write_b128 v196, v[144:147] offset:26400
	ds_write_b128 v196, v[0:3] offset:28160
.LBB0_13:
	s_or_b64 exec, exec, s[0:1]
	s_waitcnt lgkmcnt(0)
	s_barrier
	s_and_saveexec_b64 s[0:1], s[4:5]
	s_cbranch_execz .LBB0_15
; %bb.14:
	ds_read_b128 v[100:103], v196
	ds_read_b128 v[104:107], v196 offset:1760
	ds_read_b128 v[108:111], v196 offset:3520
	;; [unrolled: 1-line block ×16, first 2 shown]
.LBB0_15:
	s_or_b64 exec, exec, s[0:1]
	s_mov_b32 s20, 0x4363dd80
	s_waitcnt lgkmcnt(0)
	v_add_f64 v[208:209], v[106:107], -v[16:17]
	s_mov_b32 s0, 0x910ea3b9
	s_mov_b32 s21, 0xbfe0d888
	v_add_f64 v[200:201], v[104:105], v[14:15]
	v_add_f64 v[204:205], v[106:107], v[16:17]
	s_mov_b32 s1, 0xbfeb34fa
	v_mul_f64 v[154:155], v[208:209], s[20:21]
	v_add_f64 v[218:219], v[104:105], -v[14:15]
	v_mul_f64 v[0:1], v[204:205], s[0:1]
	v_fma_f64 v[2:3], v[200:201], s[0:1], -v[154:155]
	s_mov_b32 s40, 0x7c9e640b
	v_add_f64 v[6:7], v[100:101], v[2:3]
	v_fma_f64 v[2:3], s[20:21], v[218:219], v[0:1]
	v_add_f64 v[216:217], v[110:111], -v[20:21]
	s_mov_b32 s16, 0x2b2883cd
	s_mov_b32 s41, 0x3feca52d
	v_add_f64 v[8:9], v[102:103], v[2:3]
	v_add_f64 v[202:203], v[108:109], v[18:19]
	;; [unrolled: 1-line block ×3, first 2 shown]
	s_mov_b32 s17, 0x3fdc86fa
	v_mul_f64 v[2:3], v[216:217], s[40:41]
	v_add_f64 v[226:227], v[108:109], -v[18:19]
	v_mul_f64 v[4:5], v[210:211], s[16:17]
	v_fma_f64 v[10:11], v[202:203], s[16:17], -v[2:3]
	s_mov_b32 s26, 0xeb564b22
	v_add_f64 v[10:11], v[10:11], v[6:7]
	v_fma_f64 v[6:7], s[40:41], v[226:227], v[4:5]
	v_add_f64 v[224:225], v[114:115], -v[66:67]
	s_mov_b32 s18, 0x3259b75e
	s_mov_b32 s27, 0xbfefdd0d
	v_add_f64 v[8:9], v[6:7], v[8:9]
	v_add_f64 v[206:207], v[112:113], v[64:65]
	;; [unrolled: 1-line block ×3, first 2 shown]
	s_mov_b32 s19, 0x3fb79ee6
	v_mul_f64 v[6:7], v[224:225], s[26:27]
	s_mov_b32 s52, 0x6c9a05f6
	v_add_f64 v[234:235], v[112:113], -v[64:65]
	v_mul_f64 v[156:157], v[214:215], s[18:19]
	v_fma_f64 v[12:13], v[206:207], s[18:19], -v[6:7]
	v_add_f64 v[232:233], v[118:119], -v[70:71]
	s_mov_b32 s22, 0x6ed5f1bb
	s_mov_b32 s53, 0x3fe9895b
	v_add_f64 v[10:11], v[12:13], v[10:11]
	v_fma_f64 v[12:13], s[26:27], v[234:235], v[156:157]
	v_add_f64 v[212:213], v[116:117], v[68:69]
	v_add_f64 v[222:223], v[118:119], v[70:71]
	s_mov_b32 s23, 0xbfe348c8
	v_mul_f64 v[160:161], v[232:233], s[52:53]
	v_mov_b64_e32 v[78:79], v[66:67]
	s_mov_b32 s34, 0x5d8e7cdc
	v_add_f64 v[8:9], v[12:13], v[8:9]
	v_add_f64 v[242:243], v[116:117], -v[68:69]
	v_mul_f64 v[158:159], v[222:223], s[22:23]
	v_fma_f64 v[12:13], v[212:213], s[22:23], -v[160:161]
	v_mov_b64_e32 v[76:77], v[64:65]
	v_add_f64 v[240:241], v[122:123], -v[74:75]
	s_mov_b32 s24, 0x370991
	s_mov_b32 s35, 0xbfd71e95
	v_accvgpr_read_b32 v67, a25
	v_add_f64 v[10:11], v[12:13], v[10:11]
	v_fma_f64 v[12:13], s[52:53], v[242:243], v[158:159]
	v_add_f64 v[220:221], v[120:121], v[72:73]
	v_add_f64 v[230:231], v[122:123], v[74:75]
	s_mov_b32 s25, 0x3fedd6d0
	v_mul_f64 v[162:163], v[240:241], s[34:35]
	v_accvgpr_read_b32 v66, a24
	s_mov_b32 s38, 0xacd6c6b4
	v_add_f64 v[8:9], v[12:13], v[8:9]
	v_add_f64 v[250:251], v[120:121], -v[72:73]
	v_mul_f64 v[164:165], v[230:231], s[24:25]
	v_fma_f64 v[12:13], v[220:221], s[24:25], -v[162:163]
	v_accvgpr_read_b32 v65, a23
	v_accvgpr_read_b32 v64, a22
	v_add_f64 v[248:249], v[142:143], -v[66:67]
	s_mov_b32 s28, 0x7faef3
	s_mov_b32 s39, 0xbfc7851a
	v_add_f64 v[10:11], v[12:13], v[10:11]
	v_fma_f64 v[12:13], s[34:35], v[250:251], v[164:165]
	v_add_f64 v[228:229], v[140:141], v[64:65]
	v_add_f64 v[236:237], v[142:143], v[66:67]
	s_mov_b32 s29, 0xbfef7484
	v_mul_f64 v[166:167], v[248:249], s[38:39]
	s_mov_b32 s48, 0x2a9d6da3
	v_add_f64 v[8:9], v[12:13], v[8:9]
	v_add_f64 v[198:199], v[140:141], -v[64:65]
	v_mul_f64 v[168:169], v[236:237], s[28:29]
	v_fma_f64 v[12:13], v[228:229], s[28:29], -v[166:167]
	v_add_f64 v[254:255], v[138:139], -v[126:127]
	s_mov_b32 s30, 0x75d4884
	s_mov_b32 s49, 0x3fe58eea
	v_add_f64 v[10:11], v[12:13], v[10:11]
	v_fma_f64 v[12:13], s[38:39], v[198:199], v[168:169]
	v_add_f64 v[238:239], v[136:137], v[124:125]
	v_add_f64 v[244:245], v[138:139], v[126:127]
	s_mov_b32 s31, 0x3fe7a5f6
	v_mul_f64 v[170:171], v[254:255], s[48:49]
	s_mov_b32 s42, 0x923c349f
	v_add_f64 v[8:9], v[12:13], v[8:9]
	v_add_f64 v[150:151], v[136:137], -v[124:125]
	v_mul_f64 v[172:173], v[244:245], s[30:31]
	v_fma_f64 v[12:13], v[238:239], s[30:31], -v[170:171]
	v_add_f64 v[148:149], v[134:135], -v[130:131]
	s_mov_b32 s36, 0xc61f0d01
	s_mov_b32 s43, 0xbfeec746
	v_add_f64 v[10:11], v[12:13], v[10:11]
	v_fma_f64 v[12:13], s[48:49], v[150:151], v[172:173]
	v_add_f64 v[246:247], v[132:133], v[128:129]
	v_add_f64 v[252:253], v[134:135], v[130:131]
	s_mov_b32 s37, 0xbfd183b1
	v_mul_f64 v[174:175], v[148:149], s[42:43]
	v_add_f64 v[8:9], v[12:13], v[8:9]
	v_add_f64 v[152:153], v[132:133], -v[128:129]
	v_mul_f64 v[176:177], v[252:253], s[36:37]
	v_fma_f64 v[12:13], v[246:247], s[36:37], -v[174:175]
	v_add_f64 v[144:145], v[12:13], v[10:11]
	v_fma_f64 v[10:11], s[42:43], v[152:153], v[176:177]
	v_add_f64 v[146:147], v[10:11], v[8:9]
	s_barrier
	s_and_saveexec_b64 s[6:7], s[4:5]
	s_cbranch_execz .LBB0_17
; %bb.16:
	v_accvgpr_write_b32 a10, v88
	s_mov_b32 s47, 0x3fd71e95
	s_mov_b32 s46, s34
	v_accvgpr_write_b32 a6, v84
	v_accvgpr_write_b32 a11, v89
	;; [unrolled: 1-line block ×4, first 2 shown]
	v_mul_f64 v[88:89], v[218:219], s[38:39]
	v_accvgpr_write_b32 a2, v80
	v_accvgpr_write_b32 a7, v85
	;; [unrolled: 1-line block ×4, first 2 shown]
	v_mul_f64 v[84:85], v[226:227], s[46:47]
	v_fma_f64 v[90:91], s[28:29], v[204:205], v[88:89]
	v_accvgpr_write_b32 a66, v76
	v_accvgpr_write_b32 a3, v81
	;; [unrolled: 1-line block ×4, first 2 shown]
	v_mul_f64 v[80:81], v[234:235], s[20:21]
	v_fma_f64 v[86:87], s[24:25], v[210:211], v[84:85]
	v_add_f64 v[90:91], v[102:103], v[90:91]
	s_mov_b32 s45, 0xbfe9895b
	s_mov_b32 s44, s52
	v_accvgpr_write_b32 a70, v72
	v_accvgpr_write_b32 a67, v77
	v_accvgpr_write_b32 a68, v78
	v_accvgpr_write_b32 a69, v79
	v_mul_f64 v[76:77], v[242:243], s[48:49]
	v_fma_f64 v[82:83], s[0:1], v[214:215], v[80:81]
	v_add_f64 v[86:87], v[86:87], v[90:91]
	v_accvgpr_write_b32 a62, v68
	v_accvgpr_write_b32 a71, v73
	v_accvgpr_write_b32 a72, v74
	v_accvgpr_write_b32 a73, v75
	v_mul_f64 v[72:73], v[250:251], s[44:45]
	v_fma_f64 v[78:79], s[30:31], v[222:223], v[76:77]
	v_add_f64 v[82:83], v[82:83], v[86:87]
	;; [unrolled: 7-line block ×3, first 2 shown]
	s_mov_b32 s61, 0x3fefdd0d
	s_mov_b32 s60, s26
	v_accvgpr_write_b32 a59, v65
	v_accvgpr_write_b32 a60, v66
	;; [unrolled: 1-line block ×3, first 2 shown]
	v_mul_f64 v[64:65], v[150:151], s[42:43]
	v_fma_f64 v[70:71], s[16:17], v[236:237], v[68:69]
	v_add_f64 v[74:75], v[74:75], v[78:79]
	v_accvgpr_write_b32 a14, v94
	v_mul_f64 v[192:193], v[152:153], s[60:61]
	v_fma_f64 v[66:67], s[36:37], v[244:245], v[64:65]
	v_add_f64 v[70:71], v[70:71], v[74:75]
	v_accvgpr_write_b32 a15, v95
	v_accvgpr_write_b32 a16, v96
	;; [unrolled: 1-line block ×3, first 2 shown]
	v_mul_f64 v[96:97], v[208:209], s[38:39]
	v_fma_f64 v[194:195], s[18:19], v[252:253], v[192:193]
	v_add_f64 v[66:67], v[66:67], v[70:71]
	v_accvgpr_write_b32 a22, v24
	v_mul_f64 v[92:93], v[216:217], s[46:47]
	v_fma_f64 v[98:99], v[200:201], s[28:29], -v[96:97]
	v_accvgpr_write_b32 a23, v25
	v_accvgpr_write_b32 a24, v26
	;; [unrolled: 1-line block ×3, first 2 shown]
	v_add_f64 v[26:27], v[194:195], v[66:67]
	v_mul_f64 v[194:195], v[224:225], s[20:21]
	v_fma_f64 v[94:95], v[202:203], s[24:25], -v[92:93]
	v_add_f64 v[98:99], v[100:101], v[98:99]
	v_mul_f64 v[90:91], v[232:233], s[48:49]
	v_add_f64 v[94:95], v[94:95], v[98:99]
	v_fma_f64 v[98:99], v[206:207], s[0:1], -v[194:195]
	v_mul_f64 v[86:87], v[240:241], s[44:45]
	v_add_f64 v[94:95], v[98:99], v[94:95]
	v_fma_f64 v[98:99], v[212:213], s[30:31], -v[90:91]
	;; [unrolled: 3-line block ×4, first 2 shown]
	v_mul_f64 v[66:67], v[148:149], s[60:61]
	v_fma_f64 v[78:79], v[238:239], s[36:37], -v[74:75]
	v_add_f64 v[94:95], v[98:99], v[94:95]
	v_fma_f64 v[70:71], v[246:247], s[18:19], -v[66:67]
	v_add_f64 v[78:79], v[78:79], v[94:95]
	v_add_f64 v[24:25], v[70:71], v[78:79]
	v_fma_f64 v[78:79], v[214:215], s[0:1], -v[80:81]
	v_fma_f64 v[80:81], v[210:211], s[24:25], -v[84:85]
	v_fma_f64 v[84:85], v[204:205], s[28:29], -v[88:89]
	v_add_f64 v[84:85], v[102:103], v[84:85]
	v_add_f64 v[80:81], v[80:81], v[84:85]
	v_fma_f64 v[76:77], v[222:223], s[30:31], -v[76:77]
	v_add_f64 v[78:79], v[78:79], v[80:81]
	v_fma_f64 v[72:73], v[230:231], s[22:23], -v[72:73]
	;; [unrolled: 2-line block ×5, first 2 shown]
	v_add_f64 v[64:65], v[64:65], v[68:69]
	v_fmac_f64_e32 v[96:97], s[28:29], v[200:201]
	v_add_f64 v[68:69], v[70:71], v[64:65]
	v_fmac_f64_e32 v[92:93], s[24:25], v[202:203]
	;; [unrolled: 2-line block ×4, first 2 shown]
	v_add_f64 v[64:65], v[194:195], v[64:65]
	v_mul_f64 v[10:11], v[218:219], s[20:21]
	v_accvgpr_write_b32 a53, v17
	v_fmac_f64_e32 v[86:87], s[22:23], v[220:221]
	v_add_f64 v[64:65], v[90:91], v[64:65]
	v_accvgpr_write_b32 a52, v16
	v_accvgpr_write_b32 a51, v15
	;; [unrolled: 1-line block ×3, first 2 shown]
	v_mul_f64 v[14:15], v[226:227], s[40:41]
	v_accvgpr_write_b32 a57, v21
	v_fmac_f64_e32 v[82:83], s[16:17], v[228:229]
	v_add_f64 v[64:65], v[86:87], v[64:65]
	v_add_f64 v[0:1], v[0:1], -v[10:11]
	v_accvgpr_write_b32 a56, v20
	v_accvgpr_write_b32 a55, v19
	;; [unrolled: 1-line block ×3, first 2 shown]
	v_mul_f64 v[18:19], v[234:235], s[26:27]
	v_fmac_f64_e32 v[74:75], s[36:37], v[238:239]
	v_add_f64 v[64:65], v[82:83], v[64:65]
	v_add_f64 v[4:5], v[4:5], -v[14:15]
	v_add_f64 v[0:1], v[102:103], v[0:1]
	v_mul_f64 v[22:23], v[242:243], s[52:53]
	v_fmac_f64_e32 v[66:67], s[18:19], v[246:247]
	v_add_f64 v[64:65], v[74:75], v[64:65]
	v_add_f64 v[18:19], v[156:157], -v[18:19]
	v_add_f64 v[0:1], v[4:5], v[0:1]
	v_mul_f64 v[178:179], v[250:251], s[34:35]
	v_accvgpr_read_b32 v97, a17
	v_add_f64 v[66:67], v[66:67], v[64:65]
	v_add_f64 v[22:23], v[158:159], -v[22:23]
	v_add_f64 v[0:1], v[18:19], v[0:1]
	v_mul_f64 v[182:183], v[198:199], s[38:39]
	v_accvgpr_read_b32 v96, a16
	v_accvgpr_read_b32 v95, a15
	;; [unrolled: 1-line block ×3, first 2 shown]
	v_accvgpr_write_b32 a14, v66
	v_add_f64 v[70:71], v[164:165], -v[178:179]
	v_add_f64 v[0:1], v[22:23], v[0:1]
	v_mul_f64 v[8:9], v[200:201], s[0:1]
	v_mul_f64 v[186:187], v[150:151], s[48:49]
	v_accvgpr_write_b32 a15, v67
	v_accvgpr_write_b32 a16, v68
	;; [unrolled: 1-line block ×3, first 2 shown]
	v_add_f64 v[68:69], v[168:169], -v[182:183]
	v_add_f64 v[0:1], v[70:71], v[0:1]
	v_mul_f64 v[12:13], v[202:203], s[16:17]
	v_add_f64 v[66:67], v[172:173], -v[186:187]
	v_add_f64 v[0:1], v[68:69], v[0:1]
	v_add_f64 v[8:9], v[8:9], v[154:155]
	v_mul_f64 v[16:17], v[206:207], s[18:19]
	v_mul_f64 v[58:59], v[220:221], s[24:25]
	;; [unrolled: 1-line block ×3, first 2 shown]
	v_add_f64 v[0:1], v[66:67], v[0:1]
	v_add_f64 v[2:3], v[12:13], v[2:3]
	;; [unrolled: 1-line block ×3, first 2 shown]
	s_mov_b32 s57, 0x3feec746
	s_mov_b32 s56, s42
	v_mul_f64 v[66:67], v[218:219], s[44:45]
	v_mul_f64 v[20:21], v[212:213], s[22:23]
	v_add_f64 v[64:65], v[176:177], -v[190:191]
	v_add_f64 v[14:15], v[58:59], v[162:163]
	v_add_f64 v[6:7], v[16:17], v[6:7]
	;; [unrolled: 1-line block ×3, first 2 shown]
	v_mul_f64 v[58:59], v[226:227], s[56:57]
	v_fma_f64 v[68:69], s[22:23], v[204:205], v[66:67]
	v_add_f64 v[158:159], v[64:65], v[0:1]
	v_add_f64 v[18:19], v[20:21], v[160:161]
	;; [unrolled: 1-line block ×3, first 2 shown]
	v_mul_f64 v[20:21], v[234:235], s[34:35]
	v_fma_f64 v[64:65], s[36:37], v[210:211], v[58:59]
	v_add_f64 v[68:69], v[102:103], v[68:69]
	v_mul_f64 v[82:83], v[208:209], s[44:45]
	v_mul_f64 v[180:181], v[228:229], s[28:29]
	v_add_f64 v[2:3], v[18:19], v[2:3]
	v_mul_f64 v[16:17], v[242:243], s[20:21]
	v_fma_f64 v[22:23], s[24:25], v[214:215], v[20:21]
	v_add_f64 v[64:65], v[64:65], v[68:69]
	v_mul_f64 v[78:79], v[216:217], s[56:57]
	v_fma_f64 v[84:85], v[200:201], s[22:23], -v[82:83]
	v_mul_f64 v[184:185], v[238:239], s[30:31]
	v_add_f64 v[10:11], v[180:181], v[166:167]
	v_add_f64 v[2:3], v[14:15], v[2:3]
	s_mov_b32 s51, 0xbfe58eea
	s_mov_b32 s50, s48
	v_mul_f64 v[12:13], v[250:251], s[60:61]
	v_fma_f64 v[18:19], s[0:1], v[222:223], v[16:17]
	v_add_f64 v[22:23], v[22:23], v[64:65]
	v_mul_f64 v[74:75], v[224:225], s[34:35]
	v_fma_f64 v[80:81], v[202:203], s[36:37], -v[78:79]
	v_add_f64 v[84:85], v[100:101], v[84:85]
	v_mul_f64 v[188:189], v[246:247], s[36:37]
	v_add_f64 v[4:5], v[184:185], v[170:171]
	v_add_f64 v[2:3], v[10:11], v[2:3]
	v_mul_f64 v[8:9], v[198:199], s[50:51]
	v_fma_f64 v[14:15], s[18:19], v[230:231], v[12:13]
	v_add_f64 v[18:19], v[18:19], v[22:23]
	v_mul_f64 v[70:71], v[232:233], s[20:21]
	v_fma_f64 v[76:77], v[206:207], s[24:25], -v[74:75]
	v_add_f64 v[80:81], v[80:81], v[84:85]
	v_add_f64 v[0:1], v[188:189], v[174:175]
	;; [unrolled: 1-line block ×3, first 2 shown]
	v_mul_f64 v[4:5], v[150:151], s[38:39]
	v_fma_f64 v[10:11], s[30:31], v[236:237], v[8:9]
	v_add_f64 v[14:15], v[14:15], v[18:19]
	v_mul_f64 v[64:65], v[240:241], s[60:61]
	v_fma_f64 v[72:73], v[212:213], s[0:1], -v[70:71]
	v_add_f64 v[76:77], v[76:77], v[80:81]
	v_add_f64 v[156:157], v[0:1], v[2:3]
	v_mul_f64 v[0:1], v[152:153], s[40:41]
	v_fma_f64 v[6:7], s[28:29], v[244:245], v[4:5]
	v_add_f64 v[10:11], v[10:11], v[14:15]
	v_mul_f64 v[18:19], v[248:249], s[50:51]
	v_fma_f64 v[68:69], v[220:221], s[18:19], -v[64:65]
	v_add_f64 v[72:73], v[72:73], v[76:77]
	v_fma_f64 v[2:3], s[16:17], v[252:253], v[0:1]
	v_add_f64 v[6:7], v[6:7], v[10:11]
	v_mul_f64 v[10:11], v[254:255], s[38:39]
	v_fma_f64 v[22:23], v[228:229], s[30:31], -v[18:19]
	v_add_f64 v[68:69], v[68:69], v[72:73]
	v_add_f64 v[162:163], v[2:3], v[6:7]
	v_mul_f64 v[2:3], v[148:149], s[40:41]
	v_fma_f64 v[14:15], v[238:239], s[28:29], -v[10:11]
	v_add_f64 v[22:23], v[22:23], v[68:69]
	v_fma_f64 v[6:7], v[246:247], s[16:17], -v[2:3]
	v_add_f64 v[14:15], v[14:15], v[22:23]
	v_add_f64 v[160:161], v[6:7], v[14:15]
	v_fma_f64 v[14:15], v[214:215], s[24:25], -v[20:21]
	v_fma_f64 v[20:21], v[204:205], s[22:23], -v[66:67]
	;; [unrolled: 1-line block ×6, first 2 shown]
	v_add_f64 v[20:21], v[102:103], v[20:21]
	v_add_f64 v[16:17], v[16:17], v[20:21]
	v_add_f64 v[14:15], v[14:15], v[16:17]
	v_add_f64 v[12:13], v[12:13], v[14:15]
	v_add_f64 v[8:9], v[8:9], v[12:13]
	v_fma_f64 v[4:5], v[244:245], s[28:29], -v[4:5]
	v_add_f64 v[6:7], v[6:7], v[8:9]
	v_fma_f64 v[0:1], v[252:253], s[16:17], -v[0:1]
	v_add_f64 v[4:5], v[4:5], v[6:7]
	v_fmac_f64_e32 v[82:83], s[22:23], v[200:201]
	v_add_f64 v[166:167], v[0:1], v[4:5]
	v_fmac_f64_e32 v[78:79], s[36:37], v[202:203]
	;; [unrolled: 2-line block ×4, first 2 shown]
	v_add_f64 v[0:1], v[74:75], v[0:1]
	s_mov_b32 s59, 0x3fe0d888
	s_mov_b32 s58, s20
	v_mul_f64 v[66:67], v[218:219], s[42:43]
	v_fmac_f64_e32 v[64:65], s[18:19], v[220:221]
	v_add_f64 v[0:1], v[70:71], v[0:1]
	v_mul_f64 v[58:59], v[226:227], s[58:59]
	v_fma_f64 v[68:69], s[36:37], v[204:205], v[66:67]
	v_add_f64 v[0:1], v[64:65], v[0:1]
	s_mov_b32 s55, 0xbfeca52d
	s_mov_b32 s54, s40
	v_mul_f64 v[20:21], v[234:235], s[48:49]
	v_fma_f64 v[64:65], s[0:1], v[210:211], v[58:59]
	v_add_f64 v[68:69], v[102:103], v[68:69]
	v_mul_f64 v[82:83], v[208:209], s[42:43]
	v_fmac_f64_e32 v[18:19], s[30:31], v[228:229]
	v_mul_f64 v[16:17], v[242:243], s[54:55]
	v_fma_f64 v[22:23], s[30:31], v[214:215], v[20:21]
	v_add_f64 v[64:65], v[64:65], v[68:69]
	v_mul_f64 v[78:79], v[216:217], s[58:59]
	v_fma_f64 v[84:85], v[200:201], s[36:37], -v[82:83]
	v_add_f64 v[0:1], v[18:19], v[0:1]
	v_mul_f64 v[12:13], v[250:251], s[38:39]
	v_fma_f64 v[18:19], s[16:17], v[222:223], v[16:17]
	v_add_f64 v[22:23], v[22:23], v[64:65]
	v_mul_f64 v[74:75], v[224:225], s[48:49]
	v_fma_f64 v[80:81], v[202:203], s[0:1], -v[78:79]
	v_add_f64 v[84:85], v[100:101], v[84:85]
	v_fmac_f64_e32 v[10:11], s[28:29], v[238:239]
	v_mul_f64 v[8:9], v[198:199], s[60:61]
	v_fma_f64 v[14:15], s[28:29], v[230:231], v[12:13]
	v_add_f64 v[18:19], v[18:19], v[22:23]
	v_mul_f64 v[70:71], v[232:233], s[54:55]
	v_fma_f64 v[76:77], v[206:207], s[30:31], -v[74:75]
	v_add_f64 v[80:81], v[80:81], v[84:85]
	v_fmac_f64_e32 v[2:3], s[16:17], v[246:247]
	v_add_f64 v[0:1], v[10:11], v[0:1]
	v_mul_f64 v[4:5], v[150:151], s[34:35]
	v_fma_f64 v[10:11], s[18:19], v[236:237], v[8:9]
	v_add_f64 v[14:15], v[14:15], v[18:19]
	v_mul_f64 v[64:65], v[240:241], s[38:39]
	v_fma_f64 v[72:73], v[212:213], s[16:17], -v[70:71]
	v_add_f64 v[76:77], v[76:77], v[80:81]
	v_add_f64 v[164:165], v[2:3], v[0:1]
	v_mul_f64 v[0:1], v[152:153], s[44:45]
	v_fma_f64 v[6:7], s[24:25], v[244:245], v[4:5]
	v_add_f64 v[10:11], v[10:11], v[14:15]
	v_mul_f64 v[18:19], v[248:249], s[60:61]
	v_fma_f64 v[68:69], v[220:221], s[28:29], -v[64:65]
	v_add_f64 v[72:73], v[72:73], v[76:77]
	v_fma_f64 v[2:3], s[22:23], v[252:253], v[0:1]
	v_add_f64 v[6:7], v[6:7], v[10:11]
	v_mul_f64 v[10:11], v[254:255], s[34:35]
	v_fma_f64 v[22:23], v[228:229], s[18:19], -v[18:19]
	v_add_f64 v[68:69], v[68:69], v[72:73]
	v_add_f64 v[170:171], v[2:3], v[6:7]
	v_mul_f64 v[2:3], v[148:149], s[44:45]
	v_fma_f64 v[14:15], v[238:239], s[24:25], -v[10:11]
	v_add_f64 v[22:23], v[22:23], v[68:69]
	v_fma_f64 v[6:7], v[246:247], s[22:23], -v[2:3]
	v_add_f64 v[14:15], v[14:15], v[22:23]
	v_add_f64 v[168:169], v[6:7], v[14:15]
	v_fma_f64 v[14:15], v[214:215], s[30:31], -v[20:21]
	v_fma_f64 v[20:21], v[204:205], s[36:37], -v[66:67]
	;; [unrolled: 1-line block ×6, first 2 shown]
	v_add_f64 v[20:21], v[102:103], v[20:21]
	v_add_f64 v[16:17], v[16:17], v[20:21]
	;; [unrolled: 1-line block ×5, first 2 shown]
	v_fma_f64 v[4:5], v[244:245], s[24:25], -v[4:5]
	v_add_f64 v[6:7], v[6:7], v[8:9]
	v_fma_f64 v[0:1], v[252:253], s[22:23], -v[0:1]
	v_add_f64 v[4:5], v[4:5], v[6:7]
	v_fmac_f64_e32 v[82:83], s[36:37], v[200:201]
	v_add_f64 v[174:175], v[0:1], v[4:5]
	v_fmac_f64_e32 v[78:79], s[0:1], v[202:203]
	;; [unrolled: 2-line block ×4, first 2 shown]
	v_add_f64 v[0:1], v[74:75], v[0:1]
	v_mul_f64 v[66:67], v[218:219], s[26:27]
	v_fmac_f64_e32 v[64:65], s[28:29], v[220:221]
	v_add_f64 v[0:1], v[70:71], v[0:1]
	v_mul_f64 v[58:59], v[226:227], s[38:39]
	v_fma_f64 v[68:69], s[18:19], v[204:205], v[66:67]
	v_add_f64 v[0:1], v[64:65], v[0:1]
	v_mul_f64 v[20:21], v[234:235], s[56:57]
	v_fma_f64 v[64:65], s[28:29], v[210:211], v[58:59]
	v_add_f64 v[68:69], v[102:103], v[68:69]
	v_mul_f64 v[82:83], v[208:209], s[26:27]
	v_fmac_f64_e32 v[18:19], s[18:19], v[228:229]
	v_mul_f64 v[16:17], v[242:243], s[46:47]
	v_fma_f64 v[22:23], s[36:37], v[214:215], v[20:21]
	v_add_f64 v[64:65], v[64:65], v[68:69]
	v_mul_f64 v[78:79], v[216:217], s[38:39]
	v_fma_f64 v[84:85], v[200:201], s[18:19], -v[82:83]
	v_add_f64 v[0:1], v[18:19], v[0:1]
	v_mul_f64 v[12:13], v[250:251], s[54:55]
	v_fma_f64 v[18:19], s[24:25], v[222:223], v[16:17]
	v_add_f64 v[22:23], v[22:23], v[64:65]
	v_mul_f64 v[74:75], v[224:225], s[56:57]
	v_fma_f64 v[80:81], v[202:203], s[28:29], -v[78:79]
	v_add_f64 v[84:85], v[100:101], v[84:85]
	v_fmac_f64_e32 v[10:11], s[24:25], v[238:239]
	v_mul_f64 v[8:9], v[198:199], s[20:21]
	v_fma_f64 v[14:15], s[16:17], v[230:231], v[12:13]
	v_add_f64 v[18:19], v[18:19], v[22:23]
	v_mul_f64 v[70:71], v[232:233], s[46:47]
	v_fma_f64 v[76:77], v[206:207], s[36:37], -v[74:75]
	v_add_f64 v[80:81], v[80:81], v[84:85]
	v_fmac_f64_e32 v[2:3], s[22:23], v[246:247]
	v_add_f64 v[0:1], v[10:11], v[0:1]
	v_mul_f64 v[4:5], v[150:151], s[52:53]
	v_fma_f64 v[10:11], s[0:1], v[236:237], v[8:9]
	v_add_f64 v[14:15], v[14:15], v[18:19]
	v_mul_f64 v[64:65], v[240:241], s[54:55]
	v_fma_f64 v[72:73], v[212:213], s[24:25], -v[70:71]
	v_add_f64 v[76:77], v[76:77], v[80:81]
	v_add_f64 v[172:173], v[2:3], v[0:1]
	v_mul_f64 v[0:1], v[152:153], s[48:49]
	v_fma_f64 v[6:7], s[22:23], v[244:245], v[4:5]
	v_add_f64 v[10:11], v[10:11], v[14:15]
	v_mul_f64 v[18:19], v[248:249], s[20:21]
	v_fma_f64 v[68:69], v[220:221], s[16:17], -v[64:65]
	v_add_f64 v[72:73], v[72:73], v[76:77]
	v_fma_f64 v[2:3], s[30:31], v[252:253], v[0:1]
	v_add_f64 v[6:7], v[6:7], v[10:11]
	v_mul_f64 v[10:11], v[254:255], s[52:53]
	v_fma_f64 v[22:23], v[228:229], s[0:1], -v[18:19]
	v_add_f64 v[68:69], v[68:69], v[72:73]
	v_add_f64 v[178:179], v[2:3], v[6:7]
	v_mul_f64 v[2:3], v[148:149], s[48:49]
	v_fma_f64 v[14:15], v[238:239], s[22:23], -v[10:11]
	v_add_f64 v[22:23], v[22:23], v[68:69]
	v_fma_f64 v[6:7], v[246:247], s[30:31], -v[2:3]
	v_add_f64 v[14:15], v[14:15], v[22:23]
	v_add_f64 v[176:177], v[6:7], v[14:15]
	v_fma_f64 v[14:15], v[214:215], s[36:37], -v[20:21]
	v_fma_f64 v[20:21], v[204:205], s[18:19], -v[66:67]
	v_fma_f64 v[6:7], v[236:237], s[0:1], -v[8:9]
	v_fma_f64 v[8:9], v[230:231], s[16:17], -v[12:13]
	v_fma_f64 v[12:13], v[222:223], s[24:25], -v[16:17]
	v_fma_f64 v[16:17], v[210:211], s[28:29], -v[58:59]
	v_add_f64 v[20:21], v[102:103], v[20:21]
	v_add_f64 v[16:17], v[16:17], v[20:21]
	;; [unrolled: 1-line block ×5, first 2 shown]
	v_fma_f64 v[4:5], v[244:245], s[22:23], -v[4:5]
	v_add_f64 v[6:7], v[6:7], v[8:9]
	v_fma_f64 v[0:1], v[252:253], s[30:31], -v[0:1]
	v_add_f64 v[4:5], v[4:5], v[6:7]
	v_fmac_f64_e32 v[82:83], s[18:19], v[200:201]
	v_add_f64 v[182:183], v[0:1], v[4:5]
	v_fmac_f64_e32 v[78:79], s[28:29], v[202:203]
	;; [unrolled: 2-line block ×4, first 2 shown]
	v_add_f64 v[0:1], v[74:75], v[0:1]
	v_mul_f64 v[66:67], v[218:219], s[54:55]
	v_fmac_f64_e32 v[64:65], s[16:17], v[220:221]
	v_add_f64 v[0:1], v[70:71], v[0:1]
	s_mov_b32 s53, 0x3fc7851a
	s_mov_b32 s52, s38
	v_mul_f64 v[58:59], v[226:227], s[44:45]
	v_fma_f64 v[68:69], s[16:17], v[204:205], v[66:67]
	v_add_f64 v[0:1], v[64:65], v[0:1]
	v_mul_f64 v[20:21], v[234:235], s[52:53]
	v_fma_f64 v[64:65], s[22:23], v[210:211], v[58:59]
	v_add_f64 v[68:69], v[102:103], v[68:69]
	v_mul_f64 v[82:83], v[208:209], s[54:55]
	v_fmac_f64_e32 v[18:19], s[0:1], v[228:229]
	v_mul_f64 v[16:17], v[242:243], s[56:57]
	v_fma_f64 v[22:23], s[28:29], v[214:215], v[20:21]
	v_add_f64 v[64:65], v[64:65], v[68:69]
	v_mul_f64 v[78:79], v[216:217], s[44:45]
	v_fma_f64 v[84:85], v[200:201], s[16:17], -v[82:83]
	v_add_f64 v[0:1], v[18:19], v[0:1]
	v_mul_f64 v[12:13], v[250:251], s[48:49]
	v_fma_f64 v[18:19], s[36:37], v[222:223], v[16:17]
	v_add_f64 v[22:23], v[22:23], v[64:65]
	v_mul_f64 v[74:75], v[224:225], s[52:53]
	v_fma_f64 v[80:81], v[202:203], s[22:23], -v[78:79]
	v_add_f64 v[84:85], v[100:101], v[84:85]
	v_fmac_f64_e32 v[10:11], s[22:23], v[238:239]
	v_mul_f64 v[8:9], v[198:199], s[34:35]
	v_fma_f64 v[14:15], s[30:31], v[230:231], v[12:13]
	v_add_f64 v[18:19], v[18:19], v[22:23]
	v_mul_f64 v[70:71], v[232:233], s[56:57]
	v_fma_f64 v[76:77], v[206:207], s[28:29], -v[74:75]
	v_add_f64 v[80:81], v[80:81], v[84:85]
	v_fmac_f64_e32 v[2:3], s[30:31], v[246:247]
	v_add_f64 v[0:1], v[10:11], v[0:1]
	v_mul_f64 v[4:5], v[150:151], s[26:27]
	v_fma_f64 v[10:11], s[24:25], v[236:237], v[8:9]
	v_add_f64 v[14:15], v[14:15], v[18:19]
	v_mul_f64 v[64:65], v[240:241], s[48:49]
	v_fma_f64 v[72:73], v[212:213], s[36:37], -v[70:71]
	v_add_f64 v[76:77], v[76:77], v[80:81]
	v_add_f64 v[180:181], v[2:3], v[0:1]
	v_mul_f64 v[0:1], v[152:153], s[20:21]
	v_fma_f64 v[6:7], s[18:19], v[244:245], v[4:5]
	v_add_f64 v[10:11], v[10:11], v[14:15]
	v_mul_f64 v[18:19], v[248:249], s[34:35]
	v_fma_f64 v[68:69], v[220:221], s[30:31], -v[64:65]
	v_add_f64 v[72:73], v[72:73], v[76:77]
	v_fma_f64 v[2:3], s[0:1], v[252:253], v[0:1]
	v_add_f64 v[6:7], v[6:7], v[10:11]
	v_mul_f64 v[10:11], v[254:255], s[26:27]
	v_fma_f64 v[22:23], v[228:229], s[24:25], -v[18:19]
	v_add_f64 v[68:69], v[68:69], v[72:73]
	v_add_f64 v[186:187], v[2:3], v[6:7]
	v_mul_f64 v[2:3], v[148:149], s[20:21]
	v_fma_f64 v[14:15], v[238:239], s[18:19], -v[10:11]
	v_add_f64 v[22:23], v[22:23], v[68:69]
	v_fma_f64 v[6:7], v[246:247], s[0:1], -v[2:3]
	v_add_f64 v[14:15], v[14:15], v[22:23]
	v_add_f64 v[184:185], v[6:7], v[14:15]
	v_fma_f64 v[14:15], v[214:215], s[28:29], -v[20:21]
	v_fma_f64 v[20:21], v[204:205], s[16:17], -v[66:67]
	;; [unrolled: 1-line block ×6, first 2 shown]
	v_add_f64 v[20:21], v[102:103], v[20:21]
	v_add_f64 v[16:17], v[16:17], v[20:21]
	;; [unrolled: 1-line block ×5, first 2 shown]
	v_fma_f64 v[4:5], v[244:245], s[18:19], -v[4:5]
	v_add_f64 v[6:7], v[6:7], v[8:9]
	v_fma_f64 v[0:1], v[252:253], s[0:1], -v[0:1]
	v_add_f64 v[4:5], v[4:5], v[6:7]
	v_fmac_f64_e32 v[82:83], s[16:17], v[200:201]
	v_add_f64 v[194:195], v[0:1], v[4:5]
	v_fmac_f64_e32 v[78:79], s[22:23], v[202:203]
	;; [unrolled: 2-line block ×4, first 2 shown]
	v_add_f64 v[0:1], v[74:75], v[0:1]
	v_mul_f64 v[66:67], v[218:219], s[50:51]
	v_fmac_f64_e32 v[64:65], s[30:31], v[220:221]
	v_add_f64 v[0:1], v[70:71], v[0:1]
	v_mul_f64 v[58:59], v[226:227], s[26:27]
	v_fma_f64 v[68:69], s[30:31], v[204:205], v[66:67]
	v_add_f64 v[0:1], v[64:65], v[0:1]
	v_mul_f64 v[20:21], v[234:235], s[44:45]
	v_fma_f64 v[64:65], s[18:19], v[210:211], v[58:59]
	v_add_f64 v[68:69], v[102:103], v[68:69]
	v_mul_f64 v[82:83], v[208:209], s[50:51]
	v_fmac_f64_e32 v[18:19], s[24:25], v[228:229]
	v_mul_f64 v[16:17], v[242:243], s[38:39]
	v_fma_f64 v[22:23], s[22:23], v[214:215], v[20:21]
	v_add_f64 v[64:65], v[64:65], v[68:69]
	v_mul_f64 v[78:79], v[216:217], s[26:27]
	v_fma_f64 v[84:85], v[200:201], s[30:31], -v[82:83]
	v_add_f64 v[0:1], v[18:19], v[0:1]
	v_mul_f64 v[12:13], v[250:251], s[58:59]
	v_fma_f64 v[18:19], s[28:29], v[222:223], v[16:17]
	v_add_f64 v[22:23], v[22:23], v[64:65]
	v_mul_f64 v[74:75], v[224:225], s[44:45]
	v_fma_f64 v[80:81], v[202:203], s[18:19], -v[78:79]
	v_add_f64 v[84:85], v[100:101], v[84:85]
	v_fmac_f64_e32 v[10:11], s[18:19], v[238:239]
	v_mul_f64 v[8:9], v[198:199], s[56:57]
	v_fma_f64 v[14:15], s[0:1], v[230:231], v[12:13]
	v_add_f64 v[18:19], v[18:19], v[22:23]
	v_mul_f64 v[70:71], v[232:233], s[38:39]
	v_fma_f64 v[76:77], v[206:207], s[22:23], -v[74:75]
	v_add_f64 v[80:81], v[80:81], v[84:85]
	v_fmac_f64_e32 v[2:3], s[0:1], v[246:247]
	v_add_f64 v[0:1], v[10:11], v[0:1]
	v_mul_f64 v[4:5], v[150:151], s[40:41]
	v_fma_f64 v[10:11], s[36:37], v[236:237], v[8:9]
	v_add_f64 v[14:15], v[14:15], v[18:19]
	v_mul_f64 v[64:65], v[240:241], s[58:59]
	v_fma_f64 v[72:73], v[212:213], s[28:29], -v[70:71]
	v_add_f64 v[76:77], v[76:77], v[80:81]
	v_add_f64 v[192:193], v[2:3], v[0:1]
	v_mul_f64 v[0:1], v[152:153], s[46:47]
	v_fma_f64 v[6:7], s[16:17], v[244:245], v[4:5]
	v_add_f64 v[10:11], v[10:11], v[14:15]
	v_mul_f64 v[18:19], v[248:249], s[56:57]
	v_fma_f64 v[68:69], v[220:221], s[0:1], -v[64:65]
	v_add_f64 v[72:73], v[72:73], v[76:77]
	v_fma_f64 v[2:3], s[24:25], v[252:253], v[0:1]
	v_add_f64 v[6:7], v[6:7], v[10:11]
	v_mul_f64 v[10:11], v[254:255], s[40:41]
	v_fma_f64 v[22:23], v[228:229], s[36:37], -v[18:19]
	v_add_f64 v[68:69], v[68:69], v[72:73]
	v_add_f64 v[190:191], v[2:3], v[6:7]
	v_mul_f64 v[6:7], v[148:149], s[46:47]
	v_fma_f64 v[14:15], v[238:239], s[16:17], -v[10:11]
	v_add_f64 v[22:23], v[22:23], v[68:69]
	v_fma_f64 v[2:3], v[246:247], s[24:25], -v[6:7]
	v_add_f64 v[14:15], v[14:15], v[22:23]
	v_add_f64 v[188:189], v[2:3], v[14:15]
	v_fma_f64 v[14:15], v[214:215], s[22:23], -v[20:21]
	v_fma_f64 v[20:21], v[204:205], s[30:31], -v[66:67]
	;; [unrolled: 1-line block ×7, first 2 shown]
	v_add_f64 v[20:21], v[102:103], v[20:21]
	v_add_f64 v[16:17], v[16:17], v[20:21]
	;; [unrolled: 1-line block ×6, first 2 shown]
	v_fma_f64 v[0:1], v[252:253], s[24:25], -v[0:1]
	v_add_f64 v[2:3], v[2:3], v[4:5]
	v_fmac_f64_e32 v[82:83], s[30:31], v[200:201]
	v_add_f64 v[2:3], v[0:1], v[2:3]
	v_fmac_f64_e32 v[78:79], s[18:19], v[202:203]
	;; [unrolled: 2-line block ×4, first 2 shown]
	v_add_f64 v[0:1], v[74:75], v[0:1]
	v_add_f64 v[0:1], v[70:71], v[0:1]
	v_mul_f64 v[70:71], v[218:219], s[34:35]
	v_mul_f64 v[66:67], v[226:227], s[50:51]
	v_fma_f64 v[72:73], s[24:25], v[204:205], v[70:71]
	v_mul_f64 v[88:89], v[208:209], s[34:35]
	v_fmac_f64_e32 v[64:65], s[0:1], v[220:221]
	v_mul_f64 v[58:59], v[234:235], s[54:55]
	v_fma_f64 v[68:69], s[30:31], v[210:211], v[66:67]
	v_add_f64 v[72:73], v[102:103], v[72:73]
	v_mul_f64 v[84:85], v[216:217], s[50:51]
	v_fma_f64 v[90:91], v[200:201], s[24:25], -v[88:89]
	v_add_f64 v[0:1], v[64:65], v[0:1]
	v_mul_f64 v[20:21], v[242:243], s[26:27]
	v_fma_f64 v[64:65], s[16:17], v[214:215], v[58:59]
	v_add_f64 v[68:69], v[68:69], v[72:73]
	v_mul_f64 v[80:81], v[224:225], s[54:55]
	v_fma_f64 v[86:87], v[202:203], s[30:31], -v[84:85]
	v_add_f64 v[90:91], v[100:101], v[90:91]
	v_fmac_f64_e32 v[18:19], s[36:37], v[228:229]
	v_mul_f64 v[16:17], v[250:251], s[42:43]
	v_fma_f64 v[22:23], s[18:19], v[222:223], v[20:21]
	v_add_f64 v[64:65], v[64:65], v[68:69]
	v_mul_f64 v[76:77], v[232:233], s[26:27]
	v_fma_f64 v[82:83], v[206:207], s[16:17], -v[80:81]
	v_add_f64 v[86:87], v[86:87], v[90:91]
	v_fmac_f64_e32 v[10:11], s[16:17], v[238:239]
	v_add_f64 v[0:1], v[18:19], v[0:1]
	v_mul_f64 v[12:13], v[198:199], s[44:45]
	v_fma_f64 v[18:19], s[36:37], v[230:231], v[16:17]
	v_add_f64 v[22:23], v[22:23], v[64:65]
	v_mul_f64 v[72:73], v[240:241], s[42:43]
	v_fma_f64 v[78:79], v[212:213], s[18:19], -v[76:77]
	v_add_f64 v[82:83], v[82:83], v[86:87]
	v_fmac_f64_e32 v[6:7], s[24:25], v[246:247]
	v_add_f64 v[0:1], v[10:11], v[0:1]
	v_mul_f64 v[10:11], v[150:151], s[20:21]
	v_fma_f64 v[14:15], s[22:23], v[236:237], v[12:13]
	v_add_f64 v[18:19], v[18:19], v[22:23]
	v_mul_f64 v[64:65], v[248:249], s[44:45]
	v_fma_f64 v[74:75], v[220:221], s[36:37], -v[72:73]
	v_add_f64 v[78:79], v[78:79], v[82:83]
	v_add_f64 v[0:1], v[6:7], v[0:1]
	v_mul_f64 v[8:9], v[152:153], s[38:39]
	v_fma_f64 v[6:7], s[0:1], v[244:245], v[10:11]
	v_add_f64 v[14:15], v[14:15], v[18:19]
	v_mul_f64 v[18:19], v[254:255], s[20:21]
	v_fma_f64 v[68:69], v[228:229], s[22:23], -v[64:65]
	v_add_f64 v[74:75], v[74:75], v[78:79]
	v_fma_f64 v[4:5], s[28:29], v[252:253], v[8:9]
	v_add_f64 v[6:7], v[6:7], v[14:15]
	v_mul_f64 v[14:15], v[148:149], s[38:39]
	v_fma_f64 v[22:23], v[238:239], s[0:1], -v[18:19]
	v_add_f64 v[68:69], v[68:69], v[74:75]
	v_add_f64 v[6:7], v[4:5], v[6:7]
	v_fma_f64 v[4:5], v[246:247], s[28:29], -v[14:15]
	v_add_f64 v[22:23], v[22:23], v[68:69]
	v_add_f64 v[4:5], v[4:5], v[22:23]
	v_fma_f64 v[22:23], v[214:215], s[16:17], -v[58:59]
	v_fma_f64 v[58:59], v[210:211], s[30:31], -v[66:67]
	;; [unrolled: 1-line block ×3, first 2 shown]
	v_add_f64 v[66:67], v[102:103], v[66:67]
	v_add_f64 v[58:59], v[58:59], v[66:67]
	v_fma_f64 v[20:21], v[222:223], s[18:19], -v[20:21]
	v_add_f64 v[22:23], v[22:23], v[58:59]
	v_fma_f64 v[16:17], v[230:231], s[36:37], -v[16:17]
	;; [unrolled: 2-line block ×5, first 2 shown]
	v_add_f64 v[10:11], v[10:11], v[12:13]
	v_fmac_f64_e32 v[88:89], s[24:25], v[200:201]
	v_add_f64 v[150:151], v[8:9], v[10:11]
	v_fmac_f64_e32 v[84:85], s[30:31], v[202:203]
	;; [unrolled: 2-line block ×8, first 2 shown]
	v_add_f64 v[8:9], v[18:19], v[8:9]
	v_add_f64 v[148:149], v[14:15], v[8:9]
	;; [unrolled: 1-line block ×11, first 2 shown]
	v_accvgpr_read_b32 v20, a58
	v_add_f64 v[8:9], v[8:9], v[126:127]
	v_accvgpr_read_b32 v22, a60
	v_accvgpr_read_b32 v23, a61
	v_accvgpr_read_b32 v70, a70
	v_add_f64 v[8:9], v[8:9], v[22:23]
	v_accvgpr_read_b32 v72, a72
	v_accvgpr_read_b32 v73, a73
	;; [unrolled: 1-line block ×3, first 2 shown]
	v_add_f64 v[8:9], v[8:9], v[72:73]
	v_accvgpr_read_b32 v66, a64
	v_add_f64 v[8:9], v[8:9], v[66:67]
	v_accvgpr_read_b32 v66, a66
	v_accvgpr_read_b32 v68, a68
	;; [unrolled: 1-line block ×4, first 2 shown]
	v_add_f64 v[8:9], v[8:9], v[68:69]
	v_accvgpr_read_b32 v18, a56
	v_accvgpr_read_b32 v19, a57
	;; [unrolled: 1-line block ×3, first 2 shown]
	v_add_f64 v[8:9], v[8:9], v[18:19]
	v_accvgpr_read_b32 v14, a52
	v_accvgpr_read_b32 v15, a53
	v_add_f64 v[10:11], v[8:9], v[14:15]
	v_add_f64 v[8:9], v[100:101], v[104:105]
	;; [unrolled: 1-line block ×10, first 2 shown]
	v_accvgpr_read_b32 v21, a59
	v_add_f64 v[8:9], v[8:9], v[124:125]
	v_accvgpr_read_b32 v71, a71
	v_add_f64 v[8:9], v[8:9], v[20:21]
	v_accvgpr_read_b32 v65, a63
	v_accvgpr_read_b32 v64, a62
	v_add_f64 v[8:9], v[8:9], v[70:71]
	v_accvgpr_read_b32 v67, a67
	v_add_f64 v[8:9], v[8:9], v[64:65]
	;; [unrolled: 2-line block ×3, first 2 shown]
	v_accvgpr_write_b32 a18, v24
	v_accvgpr_read_b32 v13, a51
	v_add_f64 v[8:9], v[8:9], v[16:17]
	v_accvgpr_write_b32 a19, v25
	v_accvgpr_write_b32 a20, v26
	;; [unrolled: 1-line block ×3, first 2 shown]
	v_accvgpr_read_b32 v27, a25
	v_accvgpr_read_b32 v91, a13
	;; [unrolled: 1-line block ×4, first 2 shown]
	v_add_f64 v[8:9], v[8:9], v[12:13]
	v_accvgpr_read_b32 v12, a1
	v_accvgpr_read_b32 v26, a24
	;; [unrolled: 1-line block ×13, first 2 shown]
	v_lshlrev_b32_e32 v12, 4, v12
	ds_write_b128 v12, v[8:11]
	ds_write_b128 v12, v[148:151] offset:16
	ds_write_b128 v12, v[0:3] offset:32
	;; [unrolled: 1-line block ×16, first 2 shown]
.LBB0_17:
	s_or_b64 exec, exec, s[6:7]
	s_waitcnt lgkmcnt(0)
	s_barrier
	ds_read_b128 v[8:11], v196
	ds_read_b128 v[0:3], v196 offset:2992
	ds_read_b128 v[4:7], v196 offset:5984
	;; [unrolled: 1-line block ×9, first 2 shown]
	s_waitcnt lgkmcnt(8)
	v_mul_f64 v[18:19], v[38:39], v[2:3]
	v_fmac_f64_e32 v[18:19], v[36:37], v[0:1]
	v_mul_f64 v[0:1], v[38:39], v[0:1]
	v_fma_f64 v[22:23], v[36:37], v[2:3], -v[0:1]
	s_waitcnt lgkmcnt(7)
	v_mul_f64 v[0:1], v[34:35], v[6:7]
	v_mul_f64 v[2:3], v[34:35], v[4:5]
	v_fmac_f64_e32 v[0:1], v[32:33], v[4:5]
	v_fma_f64 v[2:3], v[32:33], v[6:7], -v[2:3]
	s_waitcnt lgkmcnt(6)
	v_mul_f64 v[4:5], v[30:31], v[14:15]
	v_mul_f64 v[6:7], v[30:31], v[12:13]
	v_fmac_f64_e32 v[4:5], v[28:29], v[12:13]
	;; [unrolled: 5-line block ×3, first 2 shown]
	v_fma_f64 v[14:15], v[24:25], v[102:103], -v[14:15]
	s_waitcnt lgkmcnt(3)
	v_mul_f64 v[24:25], v[50:51], v[110:111]
	v_fmac_f64_e32 v[24:25], v[48:49], v[108:109]
	s_waitcnt lgkmcnt(1)
	v_mul_f64 v[34:35], v[42:43], v[116:117]
	v_mul_f64 v[26:27], v[50:51], v[108:109]
	;; [unrolled: 1-line block ×5, first 2 shown]
	v_fma_f64 v[34:35], v[40:41], v[118:119], -v[34:35]
	v_add_f64 v[42:43], v[12:13], v[24:25]
	s_mov_b32 s20, 0x134454ff
	v_mul_f64 v[16:17], v[54:55], v[106:107]
	v_mul_f64 v[20:21], v[54:55], v[104:105]
	v_fma_f64 v[26:27], v[48:49], v[110:111], -v[26:27]
	v_fmac_f64_e32 v[28:29], v[44:45], v[112:113]
	v_fma_f64 v[30:31], v[44:45], v[114:115], -v[30:31]
	v_fmac_f64_e32 v[32:33], v[40:41], v[116:117]
	v_fma_f64 v[42:43], -0.5, v[42:43], v[8:9]
	v_add_f64 v[44:45], v[2:3], -v[34:35]
	s_mov_b32 s21, 0xbfee6f0e
	s_mov_b32 s18, 0x4755a5e
	;; [unrolled: 1-line block ×4, first 2 shown]
	v_fmac_f64_e32 v[16:17], v[52:53], v[104:105]
	v_fma_f64 v[20:21], v[52:53], v[106:107], -v[20:21]
	v_fma_f64 v[46:47], s[20:21], v[44:45], v[42:43]
	v_add_f64 v[48:49], v[14:15], -v[26:27]
	s_mov_b32 s19, 0xbfe2cf23
	v_add_f64 v[50:51], v[0:1], -v[12:13]
	v_add_f64 v[52:53], v[32:33], -v[24:25]
	s_mov_b32 s16, 0x372fe950
	v_fmac_f64_e32 v[42:43], s[6:7], v[44:45]
	s_mov_b32 s1, 0x3fe2cf23
	s_mov_b32 s0, s18
	v_fmac_f64_e32 v[46:47], s[18:19], v[48:49]
	v_add_f64 v[50:51], v[50:51], v[52:53]
	s_mov_b32 s17, 0x3fd3c6ef
	v_fmac_f64_e32 v[42:43], s[0:1], v[48:49]
	v_fmac_f64_e32 v[46:47], s[16:17], v[50:51]
	;; [unrolled: 1-line block ×3, first 2 shown]
	v_add_f64 v[50:51], v[0:1], v[32:33]
	v_add_f64 v[40:41], v[8:9], v[0:1]
	v_fmac_f64_e32 v[8:9], -0.5, v[50:51]
	v_add_f64 v[40:41], v[40:41], v[12:13]
	v_fma_f64 v[50:51], s[6:7], v[48:49], v[8:9]
	v_add_f64 v[52:53], v[12:13], -v[0:1]
	v_add_f64 v[54:55], v[24:25], -v[32:33]
	v_fmac_f64_e32 v[8:9], s[20:21], v[48:49]
	v_add_f64 v[48:49], v[14:15], v[26:27]
	v_add_f64 v[40:41], v[40:41], v[24:25]
	v_fmac_f64_e32 v[50:51], s[18:19], v[44:45]
	v_add_f64 v[52:53], v[52:53], v[54:55]
	v_fmac_f64_e32 v[8:9], s[0:1], v[44:45]
	v_fma_f64 v[48:49], -0.5, v[48:49], v[10:11]
	v_add_f64 v[0:1], v[0:1], -v[32:33]
	v_add_f64 v[40:41], v[40:41], v[32:33]
	v_fmac_f64_e32 v[50:51], s[16:17], v[52:53]
	v_fmac_f64_e32 v[8:9], s[16:17], v[52:53]
	v_fma_f64 v[52:53], s[6:7], v[0:1], v[48:49]
	v_add_f64 v[12:13], v[12:13], -v[24:25]
	v_add_f64 v[24:25], v[2:3], -v[14:15]
	v_add_f64 v[32:33], v[34:35], -v[26:27]
	v_fmac_f64_e32 v[48:49], s[20:21], v[0:1]
	v_fmac_f64_e32 v[52:53], s[0:1], v[12:13]
	v_add_f64 v[24:25], v[24:25], v[32:33]
	v_fmac_f64_e32 v[48:49], s[18:19], v[12:13]
	v_fmac_f64_e32 v[52:53], s[16:17], v[24:25]
	;; [unrolled: 1-line block ×3, first 2 shown]
	v_add_f64 v[24:25], v[2:3], v[34:35]
	v_add_f64 v[44:45], v[10:11], v[2:3]
	v_fmac_f64_e32 v[10:11], -0.5, v[24:25]
	v_fma_f64 v[54:55], s[20:21], v[12:13], v[10:11]
	v_fmac_f64_e32 v[10:11], s[6:7], v[12:13]
	v_fmac_f64_e32 v[54:55], s[0:1], v[0:1]
	;; [unrolled: 1-line block ×3, first 2 shown]
	v_add_f64 v[0:1], v[18:19], v[4:5]
	s_waitcnt lgkmcnt(0)
	v_mul_f64 v[36:37], v[62:63], v[122:123]
	v_add_f64 v[0:1], v[0:1], v[16:17]
	v_fmac_f64_e32 v[36:37], v[60:61], v[120:121]
	v_mul_f64 v[38:39], v[62:63], v[120:121]
	v_add_f64 v[0:1], v[0:1], v[28:29]
	v_fma_f64 v[38:39], v[60:61], v[122:123], -v[38:39]
	v_add_f64 v[44:45], v[44:45], v[14:15]
	v_add_f64 v[2:3], v[14:15], -v[2:3]
	v_add_f64 v[14:15], v[26:27], -v[34:35]
	v_add_f64 v[24:25], v[0:1], v[36:37]
	v_add_f64 v[0:1], v[16:17], v[28:29]
	;; [unrolled: 1-line block ×4, first 2 shown]
	v_fma_f64 v[26:27], -0.5, v[0:1], v[18:19]
	v_add_f64 v[0:1], v[6:7], -v[38:39]
	v_fmac_f64_e32 v[54:55], s[16:17], v[2:3]
	v_fmac_f64_e32 v[10:11], s[16:17], v[2:3]
	v_fma_f64 v[14:15], s[20:21], v[0:1], v[26:27]
	v_add_f64 v[2:3], v[20:21], -v[30:31]
	v_add_f64 v[12:13], v[4:5], -v[16:17]
	;; [unrolled: 1-line block ×3, first 2 shown]
	v_fmac_f64_e32 v[26:27], s[6:7], v[0:1]
	v_fmac_f64_e32 v[14:15], s[18:19], v[2:3]
	v_add_f64 v[12:13], v[12:13], v[32:33]
	v_fmac_f64_e32 v[26:27], s[0:1], v[2:3]
	v_fmac_f64_e32 v[14:15], s[16:17], v[12:13]
	;; [unrolled: 1-line block ×3, first 2 shown]
	v_add_f64 v[12:13], v[4:5], v[36:37]
	v_fmac_f64_e32 v[18:19], -0.5, v[12:13]
	v_fma_f64 v[32:33], s[6:7], v[2:3], v[18:19]
	v_fmac_f64_e32 v[18:19], s[20:21], v[2:3]
	v_fmac_f64_e32 v[32:33], s[18:19], v[0:1]
	;; [unrolled: 1-line block ×3, first 2 shown]
	v_add_f64 v[0:1], v[22:23], v[6:7]
	v_add_f64 v[0:1], v[0:1], v[20:21]
	;; [unrolled: 1-line block ×3, first 2 shown]
	v_add_f64 v[12:13], v[16:17], -v[4:5]
	v_add_f64 v[34:35], v[28:29], -v[36:37]
	v_add_f64 v[0:1], v[0:1], v[30:31]
	v_add_f64 v[12:13], v[12:13], v[34:35]
	;; [unrolled: 1-line block ×4, first 2 shown]
	v_fma_f64 v[58:59], -0.5, v[0:1], v[22:23]
	v_add_f64 v[0:1], v[4:5], -v[36:37]
	v_fmac_f64_e32 v[32:33], s[16:17], v[12:13]
	v_fmac_f64_e32 v[18:19], s[16:17], v[12:13]
	v_fma_f64 v[36:37], s[6:7], v[0:1], v[58:59]
	v_add_f64 v[2:3], v[16:17], -v[28:29]
	v_add_f64 v[4:5], v[6:7], -v[20:21]
	;; [unrolled: 1-line block ×3, first 2 shown]
	v_fmac_f64_e32 v[58:59], s[20:21], v[0:1]
	v_fmac_f64_e32 v[36:37], s[0:1], v[2:3]
	v_add_f64 v[4:5], v[4:5], v[12:13]
	v_fmac_f64_e32 v[58:59], s[18:19], v[2:3]
	v_fmac_f64_e32 v[36:37], s[16:17], v[4:5]
	;; [unrolled: 1-line block ×3, first 2 shown]
	v_add_f64 v[4:5], v[6:7], v[38:39]
	v_fmac_f64_e32 v[22:23], -0.5, v[4:5]
	v_fma_f64 v[28:29], s[20:21], v[2:3], v[22:23]
	v_add_f64 v[4:5], v[20:21], -v[6:7]
	v_add_f64 v[6:7], v[30:31], -v[38:39]
	v_fmac_f64_e32 v[22:23], s[6:7], v[2:3]
	v_fmac_f64_e32 v[28:29], s[0:1], v[0:1]
	v_add_f64 v[4:5], v[4:5], v[6:7]
	v_fmac_f64_e32 v[22:23], s[18:19], v[0:1]
	v_fmac_f64_e32 v[28:29], s[16:17], v[4:5]
	v_fmac_f64_e32 v[22:23], s[16:17], v[4:5]
	s_mov_b32 s22, 0x9b97f4a8
	v_mul_f64 v[30:31], v[36:37], s[18:19]
	s_mov_b32 s23, 0x3fe9e377
	v_mul_f64 v[38:39], v[28:29], s[20:21]
	v_mul_f64 v[60:61], v[22:23], s[20:21]
	s_mov_b32 s21, 0xbfd3c6ef
	s_mov_b32 s20, s16
	v_mul_f64 v[62:63], v[58:59], s[18:19]
	s_mov_b32 s19, 0xbfe9e377
	s_mov_b32 s18, s22
	v_mul_f64 v[64:65], v[36:37], s[22:23]
	v_mul_f64 v[66:67], v[28:29], s[16:17]
	;; [unrolled: 1-line block ×4, first 2 shown]
	v_fmac_f64_e32 v[30:31], s[22:23], v[14:15]
	v_fmac_f64_e32 v[38:39], s[16:17], v[32:33]
	;; [unrolled: 1-line block ×8, first 2 shown]
	v_add_f64 v[0:1], v[40:41], v[24:25]
	v_add_f64 v[4:5], v[46:47], v[30:31]
	v_add_f64 v[12:13], v[50:51], v[38:39]
	v_add_f64 v[16:17], v[8:9], v[60:61]
	v_add_f64 v[20:21], v[42:43], v[62:63]
	v_add_f64 v[2:3], v[44:45], v[34:35]
	v_add_f64 v[6:7], v[52:53], v[64:65]
	v_add_f64 v[14:15], v[54:55], v[66:67]
	v_add_f64 v[18:19], v[10:11], v[68:69]
	v_add_f64 v[22:23], v[48:49], v[58:59]
	v_add_f64 v[28:29], v[40:41], -v[24:25]
	v_add_f64 v[36:37], v[46:47], -v[30:31]
	;; [unrolled: 1-line block ×10, first 2 shown]
	s_barrier
	ds_write_b128 v56, v[0:3]
	ds_write_b128 v56, v[4:7] offset:272
	ds_write_b128 v56, v[12:15] offset:544
	;; [unrolled: 1-line block ×9, first 2 shown]
	s_waitcnt lgkmcnt(0)
	s_barrier
	s_and_saveexec_b64 s[0:1], s[2:3]
	s_cbranch_execz .LBB0_19
; %bb.18:
	ds_read_b128 v[0:3], v196
	ds_read_b128 v[4:7], v196 offset:2720
	ds_read_b128 v[12:15], v196 offset:5440
	;; [unrolled: 1-line block ×10, first 2 shown]
.LBB0_19:
	s_or_b64 exec, exec, s[0:1]
	s_and_saveexec_b64 s[0:1], s[2:3]
	s_cbranch_execz .LBB0_21
; %bb.20:
	v_accvgpr_read_b32 v57, a49
	v_accvgpr_read_b32 v56, a48
	;; [unrolled: 1-line block ×4, first 2 shown]
	s_waitcnt lgkmcnt(5)
	v_mul_f64 v[40:41], v[56:57], v[30:31]
	v_accvgpr_read_b32 v49, a45
	v_fmac_f64_e32 v[40:41], v[54:55], v[28:29]
	v_accvgpr_read_b32 v48, a44
	v_mul_f64 v[28:29], v[56:57], v[28:29]
	v_accvgpr_read_b32 v47, a43
	v_accvgpr_read_b32 v46, a42
	s_waitcnt lgkmcnt(4)
	v_mul_f64 v[42:43], v[48:49], v[38:39]
	v_fma_f64 v[44:45], v[54:55], v[30:31], -v[28:29]
	v_mul_f64 v[28:29], v[48:49], v[36:37]
	v_accvgpr_read_b32 v51, a41
	v_fmac_f64_e32 v[42:43], v[46:47], v[36:37]
	v_fma_f64 v[36:37], v[46:47], v[38:39], -v[28:29]
	v_mul_f64 v[28:29], v[96:97], v[22:23]
	v_accvgpr_read_b32 v50, a40
	v_fmac_f64_e32 v[28:29], v[94:95], v[20:21]
	v_accvgpr_read_b32 v49, a39
	v_accvgpr_read_b32 v48, a38
	s_waitcnt lgkmcnt(3)
	v_mul_f64 v[30:31], v[50:51], v[34:35]
	v_mul_f64 v[20:21], v[96:97], v[20:21]
	v_fmac_f64_e32 v[30:31], v[48:49], v[32:33]
	v_fma_f64 v[38:39], v[94:95], v[22:23], -v[20:21]
	v_mul_f64 v[20:21], v[50:51], v[32:33]
	v_mul_f64 v[32:33], v[90:91], v[18:19]
	v_accvgpr_read_b32 v57, a33
	v_fmac_f64_e32 v[32:33], v[88:89], v[16:17]
	v_accvgpr_read_b32 v56, a32
	v_mul_f64 v[16:17], v[90:91], v[16:17]
	v_fma_f64 v[22:23], v[48:49], v[34:35], -v[20:21]
	v_accvgpr_read_b32 v55, a31
	v_accvgpr_read_b32 v54, a30
	s_waitcnt lgkmcnt(2)
	v_mul_f64 v[20:21], v[56:57], v[26:27]
	v_fma_f64 v[48:49], v[88:89], v[18:19], -v[16:17]
	v_mul_f64 v[16:17], v[56:57], v[24:25]
	v_fmac_f64_e32 v[20:21], v[54:55], v[24:25]
	v_fma_f64 v[26:27], v[54:55], v[26:27], -v[16:17]
	v_mul_f64 v[34:35], v[86:87], v[14:15]
	v_accvgpr_read_b32 v57, a37
	v_fmac_f64_e32 v[34:35], v[84:85], v[12:13]
	v_accvgpr_read_b32 v56, a36
	v_mul_f64 v[12:13], v[86:87], v[12:13]
	v_accvgpr_read_b32 v55, a35
	v_accvgpr_read_b32 v54, a34
	s_waitcnt lgkmcnt(1)
	v_mul_f64 v[24:25], v[56:57], v[10:11]
	v_fma_f64 v[64:65], v[84:85], v[14:15], -v[12:13]
	v_accvgpr_read_b32 v12, a26
	v_fmac_f64_e32 v[24:25], v[54:55], v[8:9]
	v_mul_f64 v[8:9], v[56:57], v[8:9]
	v_mul_f64 v[62:63], v[82:83], v[6:7]
	v_accvgpr_read_b32 v14, a28
	v_accvgpr_read_b32 v15, a29
	v_fma_f64 v[60:61], v[54:55], v[10:11], -v[8:9]
	v_fmac_f64_e32 v[62:63], v[80:81], v[4:5]
	v_accvgpr_read_b32 v13, a27
	s_waitcnt lgkmcnt(0)
	v_mul_f64 v[54:55], v[14:15], v[146:147]
	v_mul_f64 v[4:5], v[82:83], v[4:5]
	v_fmac_f64_e32 v[54:55], v[12:13], v[144:145]
	s_mov_b32 s28, 0xfd768dbf
	v_fma_f64 v[58:59], v[80:81], v[6:7], -v[4:5]
	v_mul_f64 v[4:5], v[14:15], v[144:145]
	s_mov_b32 s30, 0xf8bb580b
	v_add_f64 v[86:87], v[62:63], -v[54:55]
	s_mov_b32 s29, 0xbfd207e7
	v_fma_f64 v[56:57], v[12:13], v[146:147], -v[4:5]
	s_mov_b32 s26, 0x9bcd5057
	s_mov_b32 s24, 0xbb3a28a1
	v_add_f64 v[70:71], v[34:35], -v[24:25]
	s_mov_b32 s31, 0x3fe14ced
	s_mov_b32 s22, 0x8764f0ba
	v_mul_f64 v[10:11], v[86:87], s[28:29]
	v_add_f64 v[74:75], v[58:59], v[56:57]
	s_mov_b32 s27, 0xbfeeb42a
	v_add_f64 v[72:73], v[32:33], -v[20:21]
	s_mov_b32 s25, 0xbfe82f19
	s_mov_b32 s20, 0x7f775887
	v_mul_f64 v[18:19], v[70:71], s[30:31]
	v_add_f64 v[66:67], v[64:65], v[60:61]
	s_mov_b32 s23, 0x3feaeb8c
	v_fma_f64 v[4:5], s[26:27], v[74:75], v[10:11]
	v_add_f64 v[98:99], v[58:59], -v[56:57]
	s_mov_b32 s6, 0x43842ef
	v_add_f64 v[92:93], v[28:29], -v[30:31]
	s_mov_b32 s19, 0x3fed1bb4
	s_mov_b32 s18, 0x8eee2c13
	;; [unrolled: 1-line block ×3, first 2 shown]
	v_mul_f64 v[104:105], v[72:73], s[24:25]
	v_add_f64 v[68:69], v[48:49], v[26:27]
	s_mov_b32 s21, 0xbfe4f49e
	v_fma_f64 v[8:9], s[22:23], v[66:67], v[18:19]
	v_add_f64 v[4:5], v[2:3], v[4:5]
	v_add_f64 v[96:97], v[64:65], -v[60:61]
	v_add_f64 v[84:85], v[62:63], v[54:55]
	v_mul_f64 v[112:113], v[98:99], s[28:29]
	v_add_f64 v[52:53], v[40:41], -v[42:43]
	s_mov_b32 s7, 0xbfefac9e
	s_mov_b32 s2, 0x640f44db
	v_mul_f64 v[102:103], v[92:93], s[18:19]
	v_add_f64 v[50:51], v[38:39], v[22:23]
	s_mov_b32 s17, 0x3fda9628
	v_fma_f64 v[16:17], s[20:21], v[68:69], v[104:105]
	v_add_f64 v[4:5], v[8:9], v[4:5]
	v_add_f64 v[94:95], v[48:49], -v[26:27]
	v_add_f64 v[82:83], v[34:35], v[24:25]
	v_mul_f64 v[108:109], v[96:97], s[30:31]
	v_fma_f64 v[114:115], v[84:85], s[26:27], -v[112:113]
	v_mul_f64 v[100:101], v[52:53], s[6:7]
	v_add_f64 v[46:47], v[44:45], v[36:37]
	s_mov_b32 s3, 0xbfc2375f
	v_fma_f64 v[78:79], s[16:17], v[50:51], v[102:103]
	v_add_f64 v[4:5], v[16:17], v[4:5]
	v_add_f64 v[90:91], v[38:39], -v[22:23]
	v_add_f64 v[80:81], v[32:33], v[20:21]
	v_mul_f64 v[16:17], v[94:95], s[24:25]
	v_fma_f64 v[110:111], v[82:83], s[22:23], -v[108:109]
	v_add_f64 v[114:115], v[0:1], v[114:115]
	v_fma_f64 v[76:77], s[2:3], v[46:47], v[100:101]
	v_add_f64 v[4:5], v[78:79], v[4:5]
	v_add_f64 v[88:89], v[44:45], -v[36:37]
	v_add_f64 v[78:79], v[28:29], v[30:31]
	v_mul_f64 v[12:13], v[90:91], s[18:19]
	v_fma_f64 v[106:107], v[80:81], s[20:21], -v[16:17]
	v_add_f64 v[110:111], v[110:111], v[114:115]
	v_add_f64 v[6:7], v[76:77], v[4:5]
	;; [unrolled: 1-line block ×3, first 2 shown]
	v_mul_f64 v[8:9], v[88:89], s[6:7]
	v_fma_f64 v[14:15], v[78:79], s[16:17], -v[12:13]
	v_add_f64 v[106:107], v[106:107], v[110:111]
	v_fma_f64 v[10:11], v[74:75], s[26:27], -v[10:11]
	v_fma_f64 v[4:5], v[76:77], s[2:3], -v[8:9]
	v_add_f64 v[14:15], v[14:15], v[106:107]
	v_fma_f64 v[18:19], v[66:67], s[22:23], -v[18:19]
	v_add_f64 v[10:11], v[2:3], v[10:11]
	v_add_f64 v[4:5], v[4:5], v[14:15]
	v_fma_f64 v[14:15], v[46:47], s[2:3], -v[100:101]
	v_fma_f64 v[100:101], v[50:51], s[16:17], -v[102:103]
	;; [unrolled: 1-line block ×3, first 2 shown]
	v_add_f64 v[10:11], v[18:19], v[10:11]
	v_add_f64 v[10:11], v[102:103], v[10:11]
	;; [unrolled: 1-line block ×3, first 2 shown]
	v_fmac_f64_e32 v[112:113], s[26:27], v[84:85]
	v_add_f64 v[10:11], v[14:15], v[10:11]
	v_fmac_f64_e32 v[108:109], s[22:23], v[82:83]
	v_add_f64 v[14:15], v[0:1], v[112:113]
	v_add_f64 v[14:15], v[108:109], v[14:15]
	s_mov_b32 s37, 0x3fefac9e
	s_mov_b32 s36, s6
	v_mul_f64 v[108:109], v[86:87], s[24:25]
	s_mov_b32 s35, 0xbfe14ced
	s_mov_b32 s34, s30
	v_mul_f64 v[104:105], v[70:71], s[36:37]
	v_fma_f64 v[110:111], s[20:21], v[74:75], v[108:109]
	v_fma_f64 v[108:109], v[74:75], s[20:21], -v[108:109]
	v_fmac_f64_e32 v[16:17], s[20:21], v[80:81]
	v_mul_f64 v[100:101], v[72:73], s[34:35]
	v_fma_f64 v[106:107], s[2:3], v[66:67], v[104:105]
	v_fma_f64 v[104:105], v[66:67], s[2:3], -v[104:105]
	v_add_f64 v[108:109], v[2:3], v[108:109]
	v_fmac_f64_e32 v[12:13], s[16:17], v[78:79]
	v_add_f64 v[14:15], v[16:17], v[14:15]
	v_mul_f64 v[18:19], v[92:93], s[28:29]
	v_fma_f64 v[102:103], s[22:23], v[68:69], v[100:101]
	v_fma_f64 v[100:101], v[68:69], s[22:23], -v[100:101]
	v_add_f64 v[104:105], v[104:105], v[108:109]
	v_fmac_f64_e32 v[8:9], s[2:3], v[76:77]
	v_add_f64 v[12:13], v[12:13], v[14:15]
	v_mul_f64 v[16:17], v[52:53], s[18:19]
	v_fma_f64 v[14:15], s[26:27], v[50:51], v[18:19]
	v_mul_f64 v[120:121], v[98:99], s[24:25]
	v_fma_f64 v[18:19], v[50:51], s[26:27], -v[18:19]
	v_add_f64 v[100:101], v[100:101], v[104:105]
	v_add_f64 v[8:9], v[8:9], v[12:13]
	v_fma_f64 v[12:13], s[16:17], v[46:47], v[16:17]
	v_add_f64 v[110:111], v[2:3], v[110:111]
	v_mul_f64 v[116:117], v[96:97], s[36:37]
	v_fma_f64 v[122:123], v[84:85], s[20:21], -v[120:121]
	v_fma_f64 v[16:17], v[46:47], s[16:17], -v[16:17]
	v_add_f64 v[18:19], v[18:19], v[100:101]
	v_fmac_f64_e32 v[120:121], s[20:21], v[84:85]
	v_add_f64 v[106:107], v[106:107], v[110:111]
	v_mul_f64 v[112:113], v[94:95], s[34:35]
	v_fma_f64 v[118:119], v[82:83], s[2:3], -v[116:117]
	v_add_f64 v[122:123], v[0:1], v[122:123]
	v_add_f64 v[18:19], v[16:17], v[18:19]
	v_fmac_f64_e32 v[116:117], s[2:3], v[82:83]
	v_add_f64 v[16:17], v[0:1], v[120:121]
	v_add_f64 v[102:103], v[102:103], v[106:107]
	v_mul_f64 v[106:107], v[90:91], s[28:29]
	v_fma_f64 v[114:115], v[80:81], s[22:23], -v[112:113]
	v_add_f64 v[118:119], v[118:119], v[122:123]
	v_fmac_f64_e32 v[112:113], s[22:23], v[80:81]
	v_add_f64 v[16:17], v[116:117], v[16:17]
	s_mov_b32 s39, 0x3fd207e7
	s_mov_b32 s38, s28
	v_mul_f64 v[116:117], v[86:87], s[6:7]
	v_add_f64 v[14:15], v[14:15], v[102:103]
	v_mul_f64 v[102:103], v[88:89], s[18:19]
	v_fma_f64 v[110:111], v[78:79], s[26:27], -v[106:107]
	v_add_f64 v[114:115], v[114:115], v[118:119]
	v_add_f64 v[16:17], v[112:113], v[16:17]
	v_mul_f64 v[112:113], v[70:71], s[38:39]
	v_fma_f64 v[118:119], s[2:3], v[74:75], v[116:117]
	v_fma_f64 v[116:117], v[74:75], s[2:3], -v[116:117]
	v_add_f64 v[14:15], v[12:13], v[14:15]
	v_fma_f64 v[12:13], v[76:77], s[16:17], -v[102:103]
	v_add_f64 v[110:111], v[110:111], v[114:115]
	v_fmac_f64_e32 v[106:107], s[26:27], v[78:79]
	v_mul_f64 v[108:109], v[72:73], s[18:19]
	v_fma_f64 v[114:115], s[26:27], v[66:67], v[112:113]
	v_fma_f64 v[112:113], v[66:67], s[26:27], -v[112:113]
	v_add_f64 v[116:117], v[2:3], v[116:117]
	v_add_f64 v[12:13], v[12:13], v[110:111]
	v_fmac_f64_e32 v[102:103], s[16:17], v[76:77]
	v_add_f64 v[16:17], v[106:107], v[16:17]
	v_mul_f64 v[106:107], v[92:93], s[34:35]
	v_fma_f64 v[110:111], s[16:17], v[68:69], v[108:109]
	v_fma_f64 v[108:109], v[68:69], s[16:17], -v[108:109]
	v_add_f64 v[112:113], v[112:113], v[116:117]
	v_add_f64 v[16:17], v[102:103], v[16:17]
	v_mul_f64 v[104:105], v[52:53], s[24:25]
	v_fma_f64 v[102:103], s[22:23], v[50:51], v[106:107]
	v_mul_f64 v[128:129], v[98:99], s[6:7]
	v_fma_f64 v[106:107], v[50:51], s[22:23], -v[106:107]
	v_add_f64 v[108:109], v[108:109], v[112:113]
	v_fma_f64 v[100:101], s[20:21], v[46:47], v[104:105]
	v_add_f64 v[118:119], v[2:3], v[118:119]
	v_mul_f64 v[124:125], v[96:97], s[38:39]
	v_fma_f64 v[130:131], v[84:85], s[2:3], -v[128:129]
	v_fma_f64 v[104:105], v[46:47], s[20:21], -v[104:105]
	v_add_f64 v[106:107], v[106:107], v[108:109]
	v_fmac_f64_e32 v[128:129], s[2:3], v[84:85]
	v_add_f64 v[114:115], v[114:115], v[118:119]
	v_mul_f64 v[120:121], v[94:95], s[18:19]
	v_fma_f64 v[126:127], v[82:83], s[26:27], -v[124:125]
	v_add_f64 v[130:131], v[0:1], v[130:131]
	v_add_f64 v[106:107], v[104:105], v[106:107]
	v_fmac_f64_e32 v[124:125], s[26:27], v[82:83]
	v_add_f64 v[104:105], v[0:1], v[128:129]
	s_mov_b32 s19, 0xbfed1bb4
	v_add_f64 v[110:111], v[110:111], v[114:115]
	v_mul_f64 v[114:115], v[90:91], s[34:35]
	v_fma_f64 v[122:123], v[80:81], s[16:17], -v[120:121]
	v_add_f64 v[126:127], v[126:127], v[130:131]
	v_fmac_f64_e32 v[120:121], s[16:17], v[80:81]
	v_add_f64 v[104:105], v[124:125], v[104:105]
	v_mul_f64 v[124:125], v[86:87], s[18:19]
	v_add_f64 v[102:103], v[102:103], v[110:111]
	v_mul_f64 v[110:111], v[88:89], s[24:25]
	v_fma_f64 v[118:119], v[78:79], s[22:23], -v[114:115]
	v_add_f64 v[122:123], v[122:123], v[126:127]
	v_add_f64 v[104:105], v[120:121], v[104:105]
	v_mul_f64 v[120:121], v[70:71], s[24:25]
	v_fma_f64 v[126:127], s[16:17], v[74:75], v[124:125]
	v_fma_f64 v[124:125], v[74:75], s[16:17], -v[124:125]
	v_add_f64 v[102:103], v[100:101], v[102:103]
	v_fma_f64 v[100:101], v[76:77], s[20:21], -v[110:111]
	v_add_f64 v[118:119], v[118:119], v[122:123]
	v_fmac_f64_e32 v[114:115], s[22:23], v[78:79]
	v_mul_f64 v[116:117], v[72:73], s[38:39]
	v_fma_f64 v[122:123], s[20:21], v[66:67], v[120:121]
	v_fma_f64 v[120:121], v[66:67], s[20:21], -v[120:121]
	v_add_f64 v[124:125], v[2:3], v[124:125]
	v_add_f64 v[100:101], v[100:101], v[118:119]
	v_fmac_f64_e32 v[110:111], s[20:21], v[76:77]
	v_add_f64 v[104:105], v[114:115], v[104:105]
	v_mul_f64 v[114:115], v[92:93], s[36:37]
	v_fma_f64 v[118:119], s[26:27], v[68:69], v[116:117]
	v_fma_f64 v[116:117], v[68:69], s[26:27], -v[116:117]
	v_add_f64 v[120:121], v[120:121], v[124:125]
	v_add_f64 v[104:105], v[110:111], v[104:105]
	v_mul_f64 v[112:113], v[52:53], s[30:31]
	v_fma_f64 v[110:111], s[2:3], v[50:51], v[114:115]
	v_mul_f64 v[136:137], v[98:99], s[18:19]
	v_fma_f64 v[114:115], v[50:51], s[2:3], -v[114:115]
	v_add_f64 v[116:117], v[116:117], v[120:121]
	v_fma_f64 v[108:109], s[22:23], v[46:47], v[112:113]
	v_add_f64 v[126:127], v[2:3], v[126:127]
	v_mul_f64 v[132:133], v[96:97], s[24:25]
	v_fma_f64 v[138:139], v[84:85], s[16:17], -v[136:137]
	v_fma_f64 v[112:113], v[46:47], s[22:23], -v[112:113]
	v_add_f64 v[114:115], v[114:115], v[116:117]
	v_fmac_f64_e32 v[136:137], s[16:17], v[84:85]
	v_add_f64 v[122:123], v[122:123], v[126:127]
	v_mul_f64 v[128:129], v[94:95], s[38:39]
	v_fma_f64 v[134:135], v[82:83], s[20:21], -v[132:133]
	v_add_f64 v[114:115], v[112:113], v[114:115]
	v_fmac_f64_e32 v[132:133], s[20:21], v[82:83]
	v_add_f64 v[112:113], v[0:1], v[136:137]
	v_add_f64 v[118:119], v[118:119], v[122:123]
	v_mul_f64 v[122:123], v[90:91], s[36:37]
	v_fma_f64 v[130:131], v[80:81], s[26:27], -v[128:129]
	v_fmac_f64_e32 v[128:129], s[26:27], v[80:81]
	v_add_f64 v[112:113], v[132:133], v[112:113]
	v_fma_f64 v[126:127], v[78:79], s[2:3], -v[122:123]
	v_fmac_f64_e32 v[122:123], s[2:3], v[78:79]
	v_add_f64 v[112:113], v[128:129], v[112:113]
	v_mul_f64 v[52:53], v[52:53], s[28:29]
	v_mul_f64 v[120:121], v[72:73], s[6:7]
	v_mul_f64 v[86:87], v[86:87], s[34:35]
	v_add_f64 v[138:139], v[0:1], v[138:139]
	v_add_f64 v[112:113], v[122:123], v[112:113]
	v_fma_f64 v[116:117], s[26:27], v[46:47], v[52:53]
	v_fma_f64 v[72:73], s[2:3], v[68:69], v[120:121]
	v_mul_f64 v[122:123], v[70:71], s[18:19]
	v_fma_f64 v[46:47], v[46:47], s[26:27], -v[52:53]
	v_fma_f64 v[52:53], v[68:69], s[2:3], -v[120:121]
	;; [unrolled: 1-line block ×3, first 2 shown]
	v_add_f64 v[110:111], v[110:111], v[118:119]
	v_mul_f64 v[118:119], v[88:89], s[30:31]
	v_add_f64 v[134:135], v[134:135], v[138:139]
	v_fma_f64 v[70:71], s[16:17], v[66:67], v[122:123]
	v_fma_f64 v[66:67], v[66:67], s[16:17], -v[122:123]
	v_add_f64 v[68:69], v[2:3], v[68:69]
	v_add_f64 v[110:111], v[108:109], v[110:111]
	v_fma_f64 v[108:109], v[76:77], s[22:23], -v[118:119]
	v_add_f64 v[130:131], v[130:131], v[134:135]
	v_fmac_f64_e32 v[118:119], s[22:23], v[76:77]
	v_mul_f64 v[92:93], v[92:93], s[24:25]
	v_add_f64 v[66:67], v[66:67], v[68:69]
	v_add_f64 v[126:127], v[126:127], v[130:131]
	;; [unrolled: 1-line block ×3, first 2 shown]
	v_fma_f64 v[118:119], s[20:21], v[50:51], v[92:93]
	v_mul_f64 v[98:99], v[98:99], s[34:35]
	v_fma_f64 v[50:51], v[50:51], s[20:21], -v[92:93]
	v_add_f64 v[52:53], v[52:53], v[66:67]
	v_add_f64 v[108:109], v[108:109], v[126:127]
	v_fma_f64 v[124:125], s[22:23], v[74:75], v[86:87]
	v_fma_f64 v[126:127], v[84:85], s[22:23], -v[98:99]
	v_add_f64 v[50:51], v[50:51], v[52:53]
	v_fmac_f64_e32 v[98:99], s[22:23], v[84:85]
	v_add_f64 v[124:125], v[2:3], v[124:125]
	v_add_f64 v[126:127], v[0:1], v[126:127]
	;; [unrolled: 1-line block ×15, first 2 shown]
	v_mul_f64 v[96:97], v[96:97], s[18:19]
	v_add_f64 v[2:3], v[2:3], v[36:37]
	v_add_f64 v[0:1], v[0:1], v[42:43]
	;; [unrolled: 1-line block ×3, first 2 shown]
	v_mul_f64 v[94:95], v[94:95], s[6:7]
	v_fma_f64 v[124:125], v[82:83], s[16:17], -v[96:97]
	v_fmac_f64_e32 v[96:97], s[16:17], v[82:83]
	v_add_f64 v[2:3], v[2:3], v[22:23]
	v_add_f64 v[0:1], v[0:1], v[30:31]
	;; [unrolled: 1-line block ×3, first 2 shown]
	v_mul_f64 v[90:91], v[90:91], s[24:25]
	v_fma_f64 v[118:119], v[80:81], s[2:3], -v[94:95]
	v_add_f64 v[124:125], v[124:125], v[126:127]
	v_fmac_f64_e32 v[94:95], s[2:3], v[80:81]
	v_add_f64 v[46:47], v[96:97], v[46:47]
	v_add_f64 v[2:3], v[2:3], v[26:27]
	;; [unrolled: 1-line block ×4, first 2 shown]
	v_mul_f64 v[88:89], v[88:89], s[28:29]
	v_fma_f64 v[116:117], v[78:79], s[20:21], -v[90:91]
	v_add_f64 v[118:119], v[118:119], v[124:125]
	v_fmac_f64_e32 v[90:91], s[20:21], v[78:79]
	v_add_f64 v[46:47], v[94:95], v[46:47]
	v_add_f64 v[2:3], v[2:3], v[60:61]
	;; [unrolled: 1-line block ×3, first 2 shown]
	v_fma_f64 v[70:71], v[76:77], s[26:27], -v[88:89]
	v_add_f64 v[116:117], v[116:117], v[118:119]
	v_fmac_f64_e32 v[88:89], s[26:27], v[76:77]
	v_add_f64 v[46:47], v[90:91], v[46:47]
	v_add_f64 v[2:3], v[2:3], v[56:57]
	v_add_f64 v[0:1], v[0:1], v[54:55]
	v_add_f64 v[70:71], v[70:71], v[116:117]
	v_add_f64 v[50:51], v[88:89], v[46:47]
	ds_write_b128 v196, v[0:3]
	ds_write_b128 v196, v[50:53] offset:2720
	ds_write_b128 v196, v[112:115] offset:5440
	;; [unrolled: 1-line block ×10, first 2 shown]
.LBB0_21:
	s_or_b64 exec, exec, s[0:1]
	s_waitcnt lgkmcnt(0)
	s_barrier
	s_and_b64 exec, exec, s[4:5]
	s_cbranch_execz .LBB0_23
; %bb.22:
	global_load_dwordx4 v[0:3], v196, s[12:13]
	v_accvgpr_read_b32 v26, a0
	v_mad_u64_u32 v[14:15], s[0:1], s10, v26, 0
	ds_read_b128 v[4:7], v196
	ds_read_b128 v[8:11], v196 offset:1760
	ds_read_b128 v[18:21], v196 offset:28160
	v_mov_b32_e32 v22, v15
	v_mad_u64_u32 v[16:17], s[2:3], s8, v197, 0
	v_mad_u64_u32 v[22:23], s[2:3], s11, v26, v[22:23]
	v_mov_b32_e32 v12, s14
	v_mov_b32_e32 v13, s15
	;; [unrolled: 1-line block ×4, first 2 shown]
	s_mov_b32 s0, 0xfa401186
	v_mad_u64_u32 v[24:25], s[2:3], s9, v197, v[24:25]
	v_lshl_add_u64 v[12:13], v[14:15], 4, v[12:13]
	s_mov_b32 s1, 0x3f4185e2
	v_mov_b32_e32 v17, v24
	v_lshl_add_u64 v[12:13], v[16:17], 4, v[12:13]
	v_mov_b32_e32 v24, 0x6e0
	s_mul_i32 s2, s9, 0x6e0
	v_mov_b32_e32 v197, 0
	s_movk_i32 s3, 0x1000
	s_waitcnt vmcnt(0) lgkmcnt(2)
	v_mul_f64 v[14:15], v[6:7], v[2:3]
	v_mul_f64 v[2:3], v[4:5], v[2:3]
	v_fmac_f64_e32 v[14:15], v[4:5], v[0:1]
	v_fma_f64 v[2:3], v[0:1], v[6:7], -v[2:3]
	v_mul_f64 v[0:1], v[14:15], s[0:1]
	v_mul_f64 v[2:3], v[2:3], s[0:1]
	global_store_dwordx4 v[12:13], v[0:3], off
	global_load_dwordx4 v[0:3], v196, s[12:13] offset:1760
	v_mad_u64_u32 v[12:13], s[4:5], s8, v24, v[12:13]
	v_add_u32_e32 v13, s2, v13
	v_lshl_add_u64 v[14:15], s[12:13], 0, v[196:197]
	v_add_co_u32_e32 v16, vcc, s3, v14
	s_movk_i32 s3, 0x2000
	s_nop 0
	v_addc_co_u32_e32 v17, vcc, 0, v15, vcc
	s_waitcnt vmcnt(0) lgkmcnt(1)
	v_mul_f64 v[4:5], v[10:11], v[2:3]
	v_mul_f64 v[2:3], v[8:9], v[2:3]
	v_fmac_f64_e32 v[4:5], v[8:9], v[0:1]
	v_fma_f64 v[2:3], v[0:1], v[10:11], -v[2:3]
	v_mul_f64 v[0:1], v[4:5], s[0:1]
	v_mul_f64 v[2:3], v[2:3], s[0:1]
	global_store_dwordx4 v[12:13], v[0:3], off
	global_load_dwordx4 v[0:3], v196, s[12:13] offset:3520
	ds_read_b128 v[4:7], v196 offset:3520
	ds_read_b128 v[8:11], v196 offset:5280
	v_mad_u64_u32 v[12:13], s[4:5], s8, v24, v[12:13]
	v_add_u32_e32 v13, s2, v13
	s_waitcnt vmcnt(0) lgkmcnt(1)
	v_mul_f64 v[22:23], v[6:7], v[2:3]
	v_mul_f64 v[2:3], v[4:5], v[2:3]
	v_fmac_f64_e32 v[22:23], v[4:5], v[0:1]
	v_fma_f64 v[2:3], v[0:1], v[6:7], -v[2:3]
	v_mul_f64 v[0:1], v[22:23], s[0:1]
	v_mul_f64 v[2:3], v[2:3], s[0:1]
	global_store_dwordx4 v[12:13], v[0:3], off
	global_load_dwordx4 v[0:3], v[16:17], off offset:1184
	v_mad_u64_u32 v[12:13], s[4:5], s8, v24, v[12:13]
	v_add_u32_e32 v13, s2, v13
	s_waitcnt vmcnt(0) lgkmcnt(0)
	v_mul_f64 v[4:5], v[10:11], v[2:3]
	v_mul_f64 v[2:3], v[8:9], v[2:3]
	v_fmac_f64_e32 v[4:5], v[8:9], v[0:1]
	v_fma_f64 v[2:3], v[0:1], v[10:11], -v[2:3]
	v_mul_f64 v[0:1], v[4:5], s[0:1]
	v_mul_f64 v[2:3], v[2:3], s[0:1]
	global_store_dwordx4 v[12:13], v[0:3], off
	global_load_dwordx4 v[0:3], v[16:17], off offset:2944
	ds_read_b128 v[4:7], v196 offset:7040
	ds_read_b128 v[8:11], v196 offset:8800
	v_mad_u64_u32 v[12:13], s[4:5], s8, v24, v[12:13]
	v_add_co_u32_e32 v16, vcc, s3, v14
	v_add_u32_e32 v13, s2, v13
	s_nop 0
	v_addc_co_u32_e32 v17, vcc, 0, v15, vcc
	s_movk_i32 s3, 0x3000
	s_waitcnt vmcnt(0) lgkmcnt(1)
	v_mul_f64 v[22:23], v[6:7], v[2:3]
	v_mul_f64 v[2:3], v[4:5], v[2:3]
	v_fmac_f64_e32 v[22:23], v[4:5], v[0:1]
	v_fma_f64 v[2:3], v[0:1], v[6:7], -v[2:3]
	v_mul_f64 v[0:1], v[22:23], s[0:1]
	v_mul_f64 v[2:3], v[2:3], s[0:1]
	global_store_dwordx4 v[12:13], v[0:3], off
	global_load_dwordx4 v[0:3], v[16:17], off offset:608
	v_mad_u64_u32 v[12:13], s[4:5], s8, v24, v[12:13]
	v_add_u32_e32 v13, s2, v13
	s_waitcnt vmcnt(0) lgkmcnt(0)
	v_mul_f64 v[4:5], v[10:11], v[2:3]
	v_mul_f64 v[2:3], v[8:9], v[2:3]
	v_fmac_f64_e32 v[4:5], v[8:9], v[0:1]
	v_fma_f64 v[2:3], v[0:1], v[10:11], -v[2:3]
	v_mul_f64 v[0:1], v[4:5], s[0:1]
	v_mul_f64 v[2:3], v[2:3], s[0:1]
	global_store_dwordx4 v[12:13], v[0:3], off
	global_load_dwordx4 v[0:3], v[16:17], off offset:2368
	ds_read_b128 v[4:7], v196 offset:10560
	ds_read_b128 v[8:11], v196 offset:12320
	v_mad_u64_u32 v[12:13], s[4:5], s8, v24, v[12:13]
	v_add_co_u32_e32 v16, vcc, s3, v14
	v_add_u32_e32 v13, s2, v13
	s_nop 0
	v_addc_co_u32_e32 v17, vcc, 0, v15, vcc
	s_movk_i32 s3, 0x4000
	s_waitcnt vmcnt(0) lgkmcnt(1)
	v_mul_f64 v[22:23], v[6:7], v[2:3]
	v_mul_f64 v[2:3], v[4:5], v[2:3]
	v_fmac_f64_e32 v[22:23], v[4:5], v[0:1]
	v_fma_f64 v[2:3], v[0:1], v[6:7], -v[2:3]
	v_mul_f64 v[0:1], v[22:23], s[0:1]
	v_mul_f64 v[2:3], v[2:3], s[0:1]
	global_store_dwordx4 v[12:13], v[0:3], off
	global_load_dwordx4 v[0:3], v[16:17], off offset:32
	v_mad_u64_u32 v[12:13], s[4:5], s8, v24, v[12:13]
	v_add_u32_e32 v13, s2, v13
	s_waitcnt vmcnt(0) lgkmcnt(0)
	v_mul_f64 v[4:5], v[10:11], v[2:3]
	v_mul_f64 v[2:3], v[8:9], v[2:3]
	v_fmac_f64_e32 v[4:5], v[8:9], v[0:1]
	v_fma_f64 v[2:3], v[0:1], v[10:11], -v[2:3]
	v_mul_f64 v[0:1], v[4:5], s[0:1]
	v_mul_f64 v[2:3], v[2:3], s[0:1]
	global_store_dwordx4 v[12:13], v[0:3], off
	global_load_dwordx4 v[0:3], v[16:17], off offset:1792
	ds_read_b128 v[4:7], v196 offset:14080
	ds_read_b128 v[8:11], v196 offset:15840
	v_mad_u64_u32 v[12:13], s[4:5], s8, v24, v[12:13]
	v_add_u32_e32 v13, s2, v13
	s_waitcnt vmcnt(0) lgkmcnt(1)
	v_mul_f64 v[22:23], v[6:7], v[2:3]
	v_mul_f64 v[2:3], v[4:5], v[2:3]
	v_fmac_f64_e32 v[22:23], v[4:5], v[0:1]
	v_fma_f64 v[2:3], v[0:1], v[6:7], -v[2:3]
	v_mul_f64 v[0:1], v[22:23], s[0:1]
	v_mul_f64 v[2:3], v[2:3], s[0:1]
	global_store_dwordx4 v[12:13], v[0:3], off
	global_load_dwordx4 v[0:3], v[16:17], off offset:3552
	v_mad_u64_u32 v[12:13], s[4:5], s8, v24, v[12:13]
	v_add_co_u32_e32 v16, vcc, s3, v14
	v_add_u32_e32 v13, s2, v13
	s_nop 0
	v_addc_co_u32_e32 v17, vcc, 0, v15, vcc
	s_movk_i32 s3, 0x5000
	s_waitcnt vmcnt(0) lgkmcnt(0)
	v_mul_f64 v[4:5], v[10:11], v[2:3]
	v_mul_f64 v[2:3], v[8:9], v[2:3]
	v_fmac_f64_e32 v[4:5], v[8:9], v[0:1]
	v_fma_f64 v[2:3], v[0:1], v[10:11], -v[2:3]
	v_mul_f64 v[0:1], v[4:5], s[0:1]
	v_mul_f64 v[2:3], v[2:3], s[0:1]
	global_store_dwordx4 v[12:13], v[0:3], off
	global_load_dwordx4 v[0:3], v[16:17], off offset:1216
	ds_read_b128 v[4:7], v196 offset:17600
	ds_read_b128 v[8:11], v196 offset:19360
	v_mad_u64_u32 v[12:13], s[4:5], s8, v24, v[12:13]
	v_add_u32_e32 v13, s2, v13
	s_waitcnt vmcnt(0) lgkmcnt(1)
	v_mul_f64 v[22:23], v[6:7], v[2:3]
	v_mul_f64 v[2:3], v[4:5], v[2:3]
	v_fmac_f64_e32 v[22:23], v[4:5], v[0:1]
	v_fma_f64 v[2:3], v[0:1], v[6:7], -v[2:3]
	v_mul_f64 v[0:1], v[22:23], s[0:1]
	v_mul_f64 v[2:3], v[2:3], s[0:1]
	global_store_dwordx4 v[12:13], v[0:3], off
	global_load_dwordx4 v[0:3], v[16:17], off offset:2976
	v_mad_u64_u32 v[12:13], s[4:5], s8, v24, v[12:13]
	v_add_co_u32_e32 v16, vcc, s3, v14
	v_add_u32_e32 v13, s2, v13
	s_nop 0
	v_addc_co_u32_e32 v17, vcc, 0, v15, vcc
	s_movk_i32 s3, 0x6000
	v_add_co_u32_e32 v14, vcc, s3, v14
	s_waitcnt vmcnt(0) lgkmcnt(0)
	v_mul_f64 v[4:5], v[10:11], v[2:3]
	v_mul_f64 v[2:3], v[8:9], v[2:3]
	v_fmac_f64_e32 v[4:5], v[8:9], v[0:1]
	v_fma_f64 v[2:3], v[0:1], v[10:11], -v[2:3]
	v_mul_f64 v[0:1], v[4:5], s[0:1]
	v_mul_f64 v[2:3], v[2:3], s[0:1]
	global_store_dwordx4 v[12:13], v[0:3], off
	global_load_dwordx4 v[0:3], v[16:17], off offset:640
	ds_read_b128 v[4:7], v196 offset:21120
	ds_read_b128 v[8:11], v196 offset:22880
	v_mad_u64_u32 v[12:13], s[4:5], s8, v24, v[12:13]
	v_add_u32_e32 v13, s2, v13
	v_addc_co_u32_e32 v15, vcc, 0, v15, vcc
	s_waitcnt vmcnt(0) lgkmcnt(1)
	v_mul_f64 v[22:23], v[6:7], v[2:3]
	v_mul_f64 v[2:3], v[4:5], v[2:3]
	v_fmac_f64_e32 v[22:23], v[4:5], v[0:1]
	v_fma_f64 v[2:3], v[0:1], v[6:7], -v[2:3]
	v_mul_f64 v[0:1], v[22:23], s[0:1]
	v_mul_f64 v[2:3], v[2:3], s[0:1]
	global_store_dwordx4 v[12:13], v[0:3], off
	global_load_dwordx4 v[0:3], v[16:17], off offset:2400
	v_mad_u64_u32 v[12:13], s[4:5], s8, v24, v[12:13]
	v_add_u32_e32 v13, s2, v13
	s_waitcnt vmcnt(0) lgkmcnt(0)
	v_mul_f64 v[4:5], v[10:11], v[2:3]
	v_mul_f64 v[2:3], v[8:9], v[2:3]
	v_fmac_f64_e32 v[4:5], v[8:9], v[0:1]
	v_fma_f64 v[2:3], v[0:1], v[10:11], -v[2:3]
	v_mul_f64 v[0:1], v[4:5], s[0:1]
	v_mul_f64 v[2:3], v[2:3], s[0:1]
	global_store_dwordx4 v[12:13], v[0:3], off
	global_load_dwordx4 v[0:3], v[14:15], off offset:64
	ds_read_b128 v[4:7], v196 offset:24640
	ds_read_b128 v[8:11], v196 offset:26400
	v_mad_u64_u32 v[12:13], s[4:5], s8, v24, v[12:13]
	v_add_u32_e32 v13, s2, v13
	s_waitcnt vmcnt(0) lgkmcnt(1)
	v_mul_f64 v[16:17], v[6:7], v[2:3]
	v_mul_f64 v[2:3], v[4:5], v[2:3]
	v_fmac_f64_e32 v[16:17], v[4:5], v[0:1]
	v_fma_f64 v[2:3], v[0:1], v[6:7], -v[2:3]
	v_mul_f64 v[0:1], v[16:17], s[0:1]
	v_mul_f64 v[2:3], v[2:3], s[0:1]
	global_store_dwordx4 v[12:13], v[0:3], off
	global_load_dwordx4 v[0:3], v[14:15], off offset:1824
	v_mad_u64_u32 v[4:5], s[4:5], s8, v24, v[12:13]
	v_add_u32_e32 v5, s2, v5
	s_waitcnt vmcnt(0) lgkmcnt(0)
	v_mul_f64 v[6:7], v[10:11], v[2:3]
	v_mul_f64 v[2:3], v[8:9], v[2:3]
	v_fmac_f64_e32 v[6:7], v[8:9], v[0:1]
	v_fma_f64 v[2:3], v[0:1], v[10:11], -v[2:3]
	v_mul_f64 v[0:1], v[6:7], s[0:1]
	v_mul_f64 v[2:3], v[2:3], s[0:1]
	global_store_dwordx4 v[4:5], v[0:3], off
	global_load_dwordx4 v[0:3], v[14:15], off offset:3584
	v_mad_u64_u32 v[4:5], s[4:5], s8, v24, v[4:5]
	v_add_u32_e32 v5, s2, v5
	s_waitcnt vmcnt(0)
	v_mul_f64 v[6:7], v[20:21], v[2:3]
	v_mul_f64 v[2:3], v[18:19], v[2:3]
	v_fmac_f64_e32 v[6:7], v[18:19], v[0:1]
	v_fma_f64 v[2:3], v[0:1], v[20:21], -v[2:3]
	v_mul_f64 v[0:1], v[6:7], s[0:1]
	v_mul_f64 v[2:3], v[2:3], s[0:1]
	global_store_dwordx4 v[4:5], v[0:3], off
.LBB0_23:
	s_endpgm
	.section	.rodata,"a",@progbits
	.p2align	6, 0x0
	.amdhsa_kernel bluestein_single_back_len1870_dim1_dp_op_CI_CI
		.amdhsa_group_segment_fixed_size 29920
		.amdhsa_private_segment_fixed_size 0
		.amdhsa_kernarg_size 104
		.amdhsa_user_sgpr_count 2
		.amdhsa_user_sgpr_dispatch_ptr 0
		.amdhsa_user_sgpr_queue_ptr 0
		.amdhsa_user_sgpr_kernarg_segment_ptr 1
		.amdhsa_user_sgpr_dispatch_id 0
		.amdhsa_user_sgpr_kernarg_preload_length 0
		.amdhsa_user_sgpr_kernarg_preload_offset 0
		.amdhsa_user_sgpr_private_segment_size 0
		.amdhsa_uses_dynamic_stack 0
		.amdhsa_enable_private_segment 0
		.amdhsa_system_sgpr_workgroup_id_x 1
		.amdhsa_system_sgpr_workgroup_id_y 0
		.amdhsa_system_sgpr_workgroup_id_z 0
		.amdhsa_system_sgpr_workgroup_info 0
		.amdhsa_system_vgpr_workitem_id 0
		.amdhsa_next_free_vgpr 410
		.amdhsa_next_free_sgpr 62
		.amdhsa_accum_offset 256
		.amdhsa_reserve_vcc 1
		.amdhsa_float_round_mode_32 0
		.amdhsa_float_round_mode_16_64 0
		.amdhsa_float_denorm_mode_32 3
		.amdhsa_float_denorm_mode_16_64 3
		.amdhsa_dx10_clamp 1
		.amdhsa_ieee_mode 1
		.amdhsa_fp16_overflow 0
		.amdhsa_tg_split 0
		.amdhsa_exception_fp_ieee_invalid_op 0
		.amdhsa_exception_fp_denorm_src 0
		.amdhsa_exception_fp_ieee_div_zero 0
		.amdhsa_exception_fp_ieee_overflow 0
		.amdhsa_exception_fp_ieee_underflow 0
		.amdhsa_exception_fp_ieee_inexact 0
		.amdhsa_exception_int_div_zero 0
	.end_amdhsa_kernel
	.text
.Lfunc_end0:
	.size	bluestein_single_back_len1870_dim1_dp_op_CI_CI, .Lfunc_end0-bluestein_single_back_len1870_dim1_dp_op_CI_CI
                                        ; -- End function
	.section	.AMDGPU.csdata,"",@progbits
; Kernel info:
; codeLenInByte = 30528
; NumSgprs: 68
; NumVgprs: 256
; NumAgprs: 154
; TotalNumVgprs: 410
; ScratchSize: 0
; MemoryBound: 0
; FloatMode: 240
; IeeeMode: 1
; LDSByteSize: 29920 bytes/workgroup (compile time only)
; SGPRBlocks: 8
; VGPRBlocks: 51
; NumSGPRsForWavesPerEU: 68
; NumVGPRsForWavesPerEU: 410
; AccumOffset: 256
; Occupancy: 1
; WaveLimiterHint : 1
; COMPUTE_PGM_RSRC2:SCRATCH_EN: 0
; COMPUTE_PGM_RSRC2:USER_SGPR: 2
; COMPUTE_PGM_RSRC2:TRAP_HANDLER: 0
; COMPUTE_PGM_RSRC2:TGID_X_EN: 1
; COMPUTE_PGM_RSRC2:TGID_Y_EN: 0
; COMPUTE_PGM_RSRC2:TGID_Z_EN: 0
; COMPUTE_PGM_RSRC2:TIDIG_COMP_CNT: 0
; COMPUTE_PGM_RSRC3_GFX90A:ACCUM_OFFSET: 63
; COMPUTE_PGM_RSRC3_GFX90A:TG_SPLIT: 0
	.text
	.p2alignl 6, 3212836864
	.fill 256, 4, 3212836864
	.type	__hip_cuid_3efbae719f3f8540,@object ; @__hip_cuid_3efbae719f3f8540
	.section	.bss,"aw",@nobits
	.globl	__hip_cuid_3efbae719f3f8540
__hip_cuid_3efbae719f3f8540:
	.byte	0                               ; 0x0
	.size	__hip_cuid_3efbae719f3f8540, 1

	.ident	"AMD clang version 19.0.0git (https://github.com/RadeonOpenCompute/llvm-project roc-6.4.0 25133 c7fe45cf4b819c5991fe208aaa96edf142730f1d)"
	.section	".note.GNU-stack","",@progbits
	.addrsig
	.addrsig_sym __hip_cuid_3efbae719f3f8540
	.amdgpu_metadata
---
amdhsa.kernels:
  - .agpr_count:     154
    .args:
      - .actual_access:  read_only
        .address_space:  global
        .offset:         0
        .size:           8
        .value_kind:     global_buffer
      - .actual_access:  read_only
        .address_space:  global
        .offset:         8
        .size:           8
        .value_kind:     global_buffer
      - .actual_access:  read_only
        .address_space:  global
        .offset:         16
        .size:           8
        .value_kind:     global_buffer
      - .actual_access:  read_only
        .address_space:  global
        .offset:         24
        .size:           8
        .value_kind:     global_buffer
      - .actual_access:  read_only
        .address_space:  global
        .offset:         32
        .size:           8
        .value_kind:     global_buffer
      - .offset:         40
        .size:           8
        .value_kind:     by_value
      - .address_space:  global
        .offset:         48
        .size:           8
        .value_kind:     global_buffer
      - .address_space:  global
        .offset:         56
        .size:           8
        .value_kind:     global_buffer
      - .address_space:  global
        .offset:         64
        .size:           8
        .value_kind:     global_buffer
      - .address_space:  global
        .offset:         72
        .size:           8
        .value_kind:     global_buffer
      - .offset:         80
        .size:           4
        .value_kind:     by_value
      - .address_space:  global
        .offset:         88
        .size:           8
        .value_kind:     global_buffer
      - .address_space:  global
        .offset:         96
        .size:           8
        .value_kind:     global_buffer
    .group_segment_fixed_size: 29920
    .kernarg_segment_align: 8
    .kernarg_segment_size: 104
    .language:       OpenCL C
    .language_version:
      - 2
      - 0
    .max_flat_workgroup_size: 187
    .name:           bluestein_single_back_len1870_dim1_dp_op_CI_CI
    .private_segment_fixed_size: 0
    .sgpr_count:     68
    .sgpr_spill_count: 0
    .symbol:         bluestein_single_back_len1870_dim1_dp_op_CI_CI.kd
    .uniform_work_group_size: 1
    .uses_dynamic_stack: false
    .vgpr_count:     410
    .vgpr_spill_count: 0
    .wavefront_size: 64
amdhsa.target:   amdgcn-amd-amdhsa--gfx950
amdhsa.version:
  - 1
  - 2
...

	.end_amdgpu_metadata
